;; amdgpu-corpus repo=ROCm/rocFFT kind=compiled arch=gfx1030 opt=O3
	.text
	.amdgcn_target "amdgcn-amd-amdhsa--gfx1030"
	.amdhsa_code_object_version 6
	.protected	fft_rtc_fwd_len3600_factors_10_10_6_6_wgs_120_tpt_120_halfLds_sp_op_CI_CI_sbrr_dirReg ; -- Begin function fft_rtc_fwd_len3600_factors_10_10_6_6_wgs_120_tpt_120_halfLds_sp_op_CI_CI_sbrr_dirReg
	.globl	fft_rtc_fwd_len3600_factors_10_10_6_6_wgs_120_tpt_120_halfLds_sp_op_CI_CI_sbrr_dirReg
	.p2align	8
	.type	fft_rtc_fwd_len3600_factors_10_10_6_6_wgs_120_tpt_120_halfLds_sp_op_CI_CI_sbrr_dirReg,@function
fft_rtc_fwd_len3600_factors_10_10_6_6_wgs_120_tpt_120_halfLds_sp_op_CI_CI_sbrr_dirReg: ; @fft_rtc_fwd_len3600_factors_10_10_6_6_wgs_120_tpt_120_halfLds_sp_op_CI_CI_sbrr_dirReg
; %bb.0:
	s_clause 0x2
	s_load_dwordx4 s[16:19], s[4:5], 0x18
	s_load_dwordx4 s[12:15], s[4:5], 0x0
	;; [unrolled: 1-line block ×3, first 2 shown]
	v_mul_u32_u24_e32 v2, 0x223, v0
	v_mov_b32_e32 v1, 0
	v_mov_b32_e32 v62, 0
	;; [unrolled: 1-line block ×3, first 2 shown]
	s_waitcnt lgkmcnt(0)
	s_load_dwordx2 s[20:21], s[16:17], 0x0
	s_load_dwordx2 s[2:3], s[18:19], 0x0
	v_cmp_lt_u64_e64 s0, s[14:15], 2
	v_add_nc_u32_sdwa v3, s6, v2 dst_sel:DWORD dst_unused:UNUSED_PAD src0_sel:DWORD src1_sel:WORD_1
	v_mov_b32_e32 v4, v1
	s_and_b32 vcc_lo, exec_lo, s0
	s_cbranch_vccnz .LBB0_8
; %bb.1:
	s_load_dwordx2 s[0:1], s[4:5], 0x10
	v_mov_b32_e32 v62, 0
	v_mov_b32_e32 v63, 0
	s_add_u32 s6, s18, 8
	s_addc_u32 s7, s19, 0
	v_mov_b32_e32 v48, v62
	s_add_u32 s22, s16, 8
	v_mov_b32_e32 v49, v63
	s_addc_u32 s23, s17, 0
	s_mov_b64 s[26:27], 1
	s_waitcnt lgkmcnt(0)
	s_add_u32 s24, s0, 8
	s_addc_u32 s25, s1, 0
.LBB0_2:                                ; =>This Inner Loop Header: Depth=1
	s_load_dwordx2 s[28:29], s[24:25], 0x0
                                        ; implicit-def: $vgpr50_vgpr51
	s_mov_b32 s0, exec_lo
	s_waitcnt lgkmcnt(0)
	v_or_b32_e32 v2, s29, v4
	v_cmpx_ne_u64_e32 0, v[1:2]
	s_xor_b32 s1, exec_lo, s0
	s_cbranch_execz .LBB0_4
; %bb.3:                                ;   in Loop: Header=BB0_2 Depth=1
	v_cvt_f32_u32_e32 v2, s28
	v_cvt_f32_u32_e32 v5, s29
	s_sub_u32 s0, 0, s28
	s_subb_u32 s30, 0, s29
	v_fmac_f32_e32 v2, 0x4f800000, v5
	v_rcp_f32_e32 v2, v2
	v_mul_f32_e32 v2, 0x5f7ffffc, v2
	v_mul_f32_e32 v5, 0x2f800000, v2
	v_trunc_f32_e32 v5, v5
	v_fmac_f32_e32 v2, 0xcf800000, v5
	v_cvt_u32_f32_e32 v5, v5
	v_cvt_u32_f32_e32 v2, v2
	v_mul_lo_u32 v6, s0, v5
	v_mul_hi_u32 v7, s0, v2
	v_mul_lo_u32 v8, s30, v2
	v_add_nc_u32_e32 v6, v7, v6
	v_mul_lo_u32 v7, s0, v2
	v_add_nc_u32_e32 v6, v6, v8
	v_mul_hi_u32 v8, v2, v7
	v_mul_lo_u32 v9, v2, v6
	v_mul_hi_u32 v10, v2, v6
	v_mul_hi_u32 v11, v5, v7
	v_mul_lo_u32 v7, v5, v7
	v_mul_hi_u32 v12, v5, v6
	v_mul_lo_u32 v6, v5, v6
	v_add_co_u32 v8, vcc_lo, v8, v9
	v_add_co_ci_u32_e32 v9, vcc_lo, 0, v10, vcc_lo
	v_add_co_u32 v7, vcc_lo, v8, v7
	v_add_co_ci_u32_e32 v7, vcc_lo, v9, v11, vcc_lo
	v_add_co_ci_u32_e32 v8, vcc_lo, 0, v12, vcc_lo
	v_add_co_u32 v6, vcc_lo, v7, v6
	v_add_co_ci_u32_e32 v7, vcc_lo, 0, v8, vcc_lo
	v_add_co_u32 v2, vcc_lo, v2, v6
	v_add_co_ci_u32_e32 v5, vcc_lo, v5, v7, vcc_lo
	v_mul_hi_u32 v6, s0, v2
	v_mul_lo_u32 v8, s30, v2
	v_mul_lo_u32 v7, s0, v5
	v_add_nc_u32_e32 v6, v6, v7
	v_mul_lo_u32 v7, s0, v2
	v_add_nc_u32_e32 v6, v6, v8
	v_mul_hi_u32 v8, v2, v7
	v_mul_lo_u32 v9, v2, v6
	v_mul_hi_u32 v10, v2, v6
	v_mul_hi_u32 v11, v5, v7
	v_mul_lo_u32 v7, v5, v7
	v_mul_hi_u32 v12, v5, v6
	v_mul_lo_u32 v6, v5, v6
	v_add_co_u32 v8, vcc_lo, v8, v9
	v_add_co_ci_u32_e32 v9, vcc_lo, 0, v10, vcc_lo
	v_add_co_u32 v7, vcc_lo, v8, v7
	v_add_co_ci_u32_e32 v7, vcc_lo, v9, v11, vcc_lo
	v_add_co_ci_u32_e32 v8, vcc_lo, 0, v12, vcc_lo
	v_add_co_u32 v6, vcc_lo, v7, v6
	v_add_co_ci_u32_e32 v7, vcc_lo, 0, v8, vcc_lo
	v_add_co_u32 v2, vcc_lo, v2, v6
	v_add_co_ci_u32_e32 v9, vcc_lo, v5, v7, vcc_lo
	v_mul_hi_u32 v11, v3, v2
	v_mad_u64_u32 v[7:8], null, v4, v2, 0
	v_mad_u64_u32 v[5:6], null, v3, v9, 0
	v_mad_u64_u32 v[9:10], null, v4, v9, 0
	v_add_co_u32 v2, vcc_lo, v11, v5
	v_add_co_ci_u32_e32 v5, vcc_lo, 0, v6, vcc_lo
	v_add_co_u32 v2, vcc_lo, v2, v7
	v_add_co_ci_u32_e32 v2, vcc_lo, v5, v8, vcc_lo
	v_add_co_ci_u32_e32 v5, vcc_lo, 0, v10, vcc_lo
	v_add_co_u32 v2, vcc_lo, v2, v9
	v_add_co_ci_u32_e32 v7, vcc_lo, 0, v5, vcc_lo
	v_mul_lo_u32 v8, s29, v2
	v_mad_u64_u32 v[5:6], null, s28, v2, 0
	v_mul_lo_u32 v9, s28, v7
	v_sub_co_u32 v5, vcc_lo, v3, v5
	v_add3_u32 v6, v6, v9, v8
	v_sub_nc_u32_e32 v8, v4, v6
	v_subrev_co_ci_u32_e64 v8, s0, s29, v8, vcc_lo
	v_add_co_u32 v9, s0, v2, 2
	v_add_co_ci_u32_e64 v10, s0, 0, v7, s0
	v_sub_co_u32 v11, s0, v5, s28
	v_sub_co_ci_u32_e32 v6, vcc_lo, v4, v6, vcc_lo
	v_subrev_co_ci_u32_e64 v8, s0, 0, v8, s0
	v_cmp_le_u32_e32 vcc_lo, s28, v11
	v_cmp_eq_u32_e64 s0, s29, v6
	v_cndmask_b32_e64 v11, 0, -1, vcc_lo
	v_cmp_le_u32_e32 vcc_lo, s29, v8
	v_cndmask_b32_e64 v12, 0, -1, vcc_lo
	v_cmp_le_u32_e32 vcc_lo, s28, v5
	;; [unrolled: 2-line block ×3, first 2 shown]
	v_cndmask_b32_e64 v13, 0, -1, vcc_lo
	v_cmp_eq_u32_e32 vcc_lo, s29, v8
	v_cndmask_b32_e64 v5, v13, v5, s0
	v_cndmask_b32_e32 v8, v12, v11, vcc_lo
	v_add_co_u32 v11, vcc_lo, v2, 1
	v_add_co_ci_u32_e32 v12, vcc_lo, 0, v7, vcc_lo
	v_cmp_ne_u32_e32 vcc_lo, 0, v8
	v_cndmask_b32_e32 v6, v12, v10, vcc_lo
	v_cndmask_b32_e32 v8, v11, v9, vcc_lo
	v_cmp_ne_u32_e32 vcc_lo, 0, v5
	v_cndmask_b32_e32 v51, v7, v6, vcc_lo
	v_cndmask_b32_e32 v50, v2, v8, vcc_lo
.LBB0_4:                                ;   in Loop: Header=BB0_2 Depth=1
	s_andn2_saveexec_b32 s0, s1
	s_cbranch_execz .LBB0_6
; %bb.5:                                ;   in Loop: Header=BB0_2 Depth=1
	v_cvt_f32_u32_e32 v2, s28
	s_sub_i32 s1, 0, s28
	v_mov_b32_e32 v51, v1
	v_rcp_iflag_f32_e32 v2, v2
	v_mul_f32_e32 v2, 0x4f7ffffe, v2
	v_cvt_u32_f32_e32 v2, v2
	v_mul_lo_u32 v5, s1, v2
	v_mul_hi_u32 v5, v2, v5
	v_add_nc_u32_e32 v2, v2, v5
	v_mul_hi_u32 v2, v3, v2
	v_mul_lo_u32 v5, v2, s28
	v_add_nc_u32_e32 v6, 1, v2
	v_sub_nc_u32_e32 v5, v3, v5
	v_subrev_nc_u32_e32 v7, s28, v5
	v_cmp_le_u32_e32 vcc_lo, s28, v5
	v_cndmask_b32_e32 v5, v5, v7, vcc_lo
	v_cndmask_b32_e32 v2, v2, v6, vcc_lo
	v_cmp_le_u32_e32 vcc_lo, s28, v5
	v_add_nc_u32_e32 v6, 1, v2
	v_cndmask_b32_e32 v50, v2, v6, vcc_lo
.LBB0_6:                                ;   in Loop: Header=BB0_2 Depth=1
	s_or_b32 exec_lo, exec_lo, s0
	v_mul_lo_u32 v2, v51, s28
	v_mul_lo_u32 v7, v50, s29
	s_load_dwordx2 s[0:1], s[22:23], 0x0
	v_mad_u64_u32 v[5:6], null, v50, s28, 0
	s_load_dwordx2 s[28:29], s[6:7], 0x0
	s_add_u32 s26, s26, 1
	s_addc_u32 s27, s27, 0
	s_add_u32 s6, s6, 8
	s_addc_u32 s7, s7, 0
	s_add_u32 s22, s22, 8
	v_add3_u32 v2, v6, v7, v2
	v_sub_co_u32 v3, vcc_lo, v3, v5
	s_addc_u32 s23, s23, 0
	s_add_u32 s24, s24, 8
	v_sub_co_ci_u32_e32 v2, vcc_lo, v4, v2, vcc_lo
	s_addc_u32 s25, s25, 0
	s_waitcnt lgkmcnt(0)
	v_mul_lo_u32 v4, s0, v2
	v_mul_lo_u32 v5, s1, v3
	v_mad_u64_u32 v[62:63], null, s0, v3, v[62:63]
	v_mul_lo_u32 v2, s28, v2
	v_mul_lo_u32 v6, s29, v3
	v_mad_u64_u32 v[48:49], null, s28, v3, v[48:49]
	v_cmp_ge_u64_e64 s0, s[26:27], s[14:15]
	v_add3_u32 v63, v5, v63, v4
	v_add3_u32 v49, v6, v49, v2
	s_and_b32 vcc_lo, exec_lo, s0
	s_cbranch_vccnz .LBB0_9
; %bb.7:                                ;   in Loop: Header=BB0_2 Depth=1
	v_mov_b32_e32 v3, v50
	v_mov_b32_e32 v4, v51
	s_branch .LBB0_2
.LBB0_8:
	v_mov_b32_e32 v48, v62
	v_mov_b32_e32 v51, v4
	;; [unrolled: 1-line block ×4, first 2 shown]
.LBB0_9:
	s_load_dwordx2 s[0:1], s[4:5], 0x28
	v_mul_hi_u32 v2, 0x2222223, v0
	s_lshl_b64 s[6:7], s[14:15], 3
                                        ; implicit-def: $vgpr88
                                        ; implicit-def: $vgpr90
                                        ; implicit-def: $vgpr92
                                        ; implicit-def: $vgpr89
                                        ; implicit-def: $vgpr91
	s_add_u32 s4, s18, s6
	s_addc_u32 s5, s19, s7
	s_waitcnt lgkmcnt(0)
	v_cmp_gt_u64_e32 vcc_lo, s[0:1], v[50:51]
	v_cmp_le_u64_e64 s0, s[0:1], v[50:51]
	s_and_saveexec_b32 s1, s0
	s_xor_b32 s0, exec_lo, s1
; %bb.10:
	v_mul_u32_u24_e32 v1, 0x78, v2
                                        ; implicit-def: $vgpr2
                                        ; implicit-def: $vgpr62_vgpr63
	v_sub_nc_u32_e32 v88, v0, v1
                                        ; implicit-def: $vgpr0
	v_add_nc_u32_e32 v90, 0x78, v88
	v_add_nc_u32_e32 v92, 0xf0, v88
	;; [unrolled: 1-line block ×4, first 2 shown]
; %bb.11:
	s_or_saveexec_b32 s1, s0
                                        ; implicit-def: $vgpr7
                                        ; implicit-def: $vgpr5
                                        ; implicit-def: $vgpr15
                                        ; implicit-def: $vgpr9
                                        ; implicit-def: $vgpr19
                                        ; implicit-def: $vgpr13
                                        ; implicit-def: $vgpr59
                                        ; implicit-def: $vgpr11
                                        ; implicit-def: $vgpr3
                                        ; implicit-def: $vgpr1
                                        ; implicit-def: $vgpr23
                                        ; implicit-def: $vgpr25
                                        ; implicit-def: $vgpr33
                                        ; implicit-def: $vgpr27
                                        ; implicit-def: $vgpr37
                                        ; implicit-def: $vgpr31
                                        ; implicit-def: $vgpr61
                                        ; implicit-def: $vgpr29
                                        ; implicit-def: $vgpr21
                                        ; implicit-def: $vgpr17
                                        ; implicit-def: $vgpr41
                                        ; implicit-def: $vgpr43
                                        ; implicit-def: $vgpr55
                                        ; implicit-def: $vgpr45
                                        ; implicit-def: $vgpr57
                                        ; implicit-def: $vgpr53
                                        ; implicit-def: $vgpr64
                                        ; implicit-def: $vgpr47
                                        ; implicit-def: $vgpr39
                                        ; implicit-def: $vgpr35
	s_xor_b32 exec_lo, exec_lo, s1
	s_cbranch_execz .LBB0_13
; %bb.12:
	s_add_u32 s6, s16, s6
	s_addc_u32 s7, s17, s7
	v_mul_u32_u24_e32 v1, 0x78, v2
	s_load_dwordx2 s[6:7], s[6:7], 0x0
	v_lshlrev_b64 v[2:3], 3, v[62:63]
	v_sub_nc_u32_e32 v88, v0, v1
	v_add_nc_u32_e32 v89, 0x168, v88
	v_mad_u64_u32 v[0:1], null, s20, v88, 0
	v_add_nc_u32_e32 v16, 0x2d0, v88
	v_add_nc_u32_e32 v17, 0x438, v88
	v_mad_u64_u32 v[4:5], null, s20, v89, 0
	v_add_nc_u32_e32 v18, 0x5a0, v88
	v_mad_u64_u32 v[8:9], null, s20, v16, 0
	v_mad_u64_u32 v[10:11], null, s21, v88, v[1:2]
	s_waitcnt lgkmcnt(0)
	v_mul_lo_u32 v13, s7, v50
	v_mul_lo_u32 v14, s6, v51
	v_mad_u64_u32 v[6:7], null, s6, v50, 0
	v_mov_b32_e32 v1, v5
	v_mad_u64_u32 v[11:12], null, s20, v17, 0
	v_mov_b32_e32 v5, v9
	v_add_nc_u32_e32 v20, 0x870, v88
	v_add_nc_u32_e32 v22, 0x9d8, v88
	v_add3_u32 v7, v7, v14, v13
	v_mad_u64_u32 v[13:14], null, s21, v89, v[1:2]
	v_mov_b32_e32 v1, v10
	v_mad_u64_u32 v[14:15], null, s20, v18, 0
	v_lshlrev_b64 v[6:7], 3, v[6:7]
	v_add_nc_u32_e32 v24, 0xb40, v88
	v_lshlrev_b64 v[0:1], 3, v[0:1]
	v_add_nc_u32_e32 v26, 0xca8, v88
	v_add_nc_u32_e32 v90, 0x78, v88
	;; [unrolled: 1-line block ×3, first 2 shown]
	v_mad_u64_u32 v[9:10], null, s21, v16, v[5:6]
	v_add_co_u32 v6, s0, s8, v6
	v_mov_b32_e32 v10, v12
	v_mov_b32_e32 v5, v13
	v_add_co_ci_u32_e64 v7, s0, s9, v7, s0
	v_add_co_u32 v6, s0, v6, v2
	v_add_nc_u32_e32 v13, 0x708, v88
	v_add_co_ci_u32_e64 v7, s0, v7, v3, s0
	v_lshlrev_b64 v[2:3], 3, v[4:5]
	v_mad_u64_u32 v[4:5], null, s21, v17, v[10:11]
	v_add_co_u32 v0, s0, v6, v0
	v_lshlrev_b64 v[8:9], 3, v[8:9]
	v_add_co_ci_u32_e64 v1, s0, v7, v1, s0
	v_add_co_u32 v2, s0, v6, v2
	v_mov_b32_e32 v5, v15
	v_mov_b32_e32 v12, v4
	v_mad_u64_u32 v[16:17], null, s20, v13, 0
	v_add_co_ci_u32_e64 v3, s0, v7, v3, s0
	v_add_co_u32 v4, s0, v6, v8
	v_mad_u64_u32 v[18:19], null, s21, v18, v[5:6]
	v_add_co_ci_u32_e64 v5, s0, v7, v9, s0
	v_lshlrev_b64 v[8:9], 3, v[11:12]
	v_mad_u64_u32 v[11:12], null, s20, v20, 0
	v_mov_b32_e32 v10, v17
	v_mov_b32_e32 v15, v18
	v_add_nc_u32_e32 v32, 0x348, v88
	v_add_co_u32 v8, s0, v6, v8
	v_add_co_ci_u32_e64 v9, s0, v7, v9, s0
	v_mad_u64_u32 v[17:18], null, s21, v13, v[10:11]
	v_mov_b32_e32 v10, v12
	v_mad_u64_u32 v[18:19], null, s20, v22, 0
	v_lshlrev_b64 v[13:14], 3, v[14:15]
	v_add_nc_u32_e32 v34, 0x4b0, v88
	v_mad_u64_u32 v[20:21], null, s21, v20, v[10:11]
	v_lshlrev_b64 v[15:16], 3, v[16:17]
	v_add_nc_u32_e32 v37, 0x618, v88
	v_mov_b32_e32 v10, v19
	v_add_co_u32 v13, s0, v6, v13
	v_add_co_ci_u32_e64 v14, s0, v7, v14, s0
	v_mov_b32_e32 v12, v20
	v_mad_u64_u32 v[20:21], null, s20, v24, 0
	v_mad_u64_u32 v[22:23], null, s21, v22, v[10:11]
	v_lshlrev_b64 v[10:11], 3, v[11:12]
	v_add_co_u32 v15, s0, v6, v15
	v_add_co_ci_u32_e64 v16, s0, v7, v16, s0
	v_mov_b32_e32 v12, v21
	v_mov_b32_e32 v19, v22
	v_mad_u64_u32 v[22:23], null, s20, v26, 0
	v_or_b32_e32 v38, 0x780, v88
	v_mad_u64_u32 v[24:25], null, s21, v24, v[12:13]
	v_lshlrev_b64 v[17:18], 3, v[18:19]
	v_add_co_u32 v10, s0, v6, v10
	v_mov_b32_e32 v12, v23
	v_add_co_ci_u32_e64 v11, s0, v7, v11, s0
	v_mov_b32_e32 v21, v24
	v_mad_u64_u32 v[24:25], null, s20, v90, 0
	v_mad_u64_u32 v[26:27], null, s21, v26, v[12:13]
	v_lshlrev_b64 v[19:20], 3, v[20:21]
	v_add_co_u32 v17, s0, v6, v17
	v_add_co_ci_u32_e64 v18, s0, v7, v18, s0
	v_mov_b32_e32 v12, v25
	v_mov_b32_e32 v23, v26
	v_mad_u64_u32 v[26:27], null, s20, v91, 0
	v_add_co_u32 v19, s0, v6, v19
	v_mad_u64_u32 v[28:29], null, s21, v90, v[12:13]
	v_lshlrev_b64 v[21:22], 3, v[22:23]
	v_add_co_ci_u32_e64 v20, s0, v7, v20, s0
	v_mov_b32_e32 v12, v27
	v_add_nc_u32_e32 v39, 0x8e8, v88
	v_add_nc_u32_e32 v40, 0xa50, v88
	v_mov_b32_e32 v25, v28
	v_mad_u64_u32 v[28:29], null, s20, v32, 0
	v_mad_u64_u32 v[30:31], null, s21, v91, v[12:13]
	v_lshlrev_b64 v[23:24], 3, v[24:25]
	v_add_co_u32 v21, s0, v6, v21
	v_add_co_ci_u32_e64 v22, s0, v7, v22, s0
	v_mov_b32_e32 v12, v29
	v_mov_b32_e32 v27, v30
	v_mad_u64_u32 v[30:31], null, s20, v34, 0
	v_add_co_u32 v23, s0, v6, v23
	v_mad_u64_u32 v[32:33], null, s21, v32, v[12:13]
	v_lshlrev_b64 v[25:26], 3, v[26:27]
	v_add_co_ci_u32_e64 v24, s0, v7, v24, s0
	v_mov_b32_e32 v12, v31
	v_add_nc_u32_e32 v41, 0xbb8, v88
	v_add_nc_u32_e32 v92, 0xf0, v88
	v_mov_b32_e32 v29, v32
	v_mad_u64_u32 v[32:33], null, s20, v37, 0
	v_mad_u64_u32 v[34:35], null, s21, v34, v[12:13]
	;; [unrolled: 1-line block ×3, first 2 shown]
	v_lshlrev_b64 v[27:28], 3, v[28:29]
	v_add_co_u32 v25, s0, v6, v25
	v_mov_b32_e32 v12, v33
	v_mov_b32_e32 v31, v34
	v_add_co_ci_u32_e64 v26, s0, v7, v26, s0
	v_add_co_u32 v27, s0, v6, v27
	v_mad_u64_u32 v[33:34], null, s21, v37, v[12:13]
	v_mov_b32_e32 v12, v36
	v_lshlrev_b64 v[29:30], 3, v[30:31]
	v_add_co_ci_u32_e64 v28, s0, v7, v28, s0
	v_add_nc_u32_e32 v42, 0x3c0, v88
	v_mad_u64_u32 v[36:37], null, s21, v38, v[12:13]
	v_mad_u64_u32 v[37:38], null, s20, v39, 0
	v_add_co_u32 v58, s0, v6, v29
	v_add_co_ci_u32_e64 v59, s0, v7, v30, s0
	v_lshlrev_b64 v[29:30], 3, v[32:33]
	v_mad_u64_u32 v[31:32], null, s20, v40, 0
	v_mad_u64_u32 v[33:34], null, s20, v41, 0
	v_mov_b32_e32 v12, v38
	v_add_co_u32 v65, s0, v6, v29
	v_add_co_ci_u32_e64 v66, s0, v7, v30, s0
	v_mad_u64_u32 v[38:39], null, s21, v39, v[12:13]
	v_mov_b32_e32 v12, v32
	v_mov_b32_e32 v32, v34
	v_lshlrev_b64 v[29:30], 3, v[35:36]
	v_add_nc_u32_e32 v39, 0xd20, v88
	v_add_nc_u32_e32 v43, 0x528, v88
	v_mad_u64_u32 v[34:35], null, s21, v40, v[12:13]
	v_mad_u64_u32 v[35:36], null, s21, v41, v[32:33]
	v_add_co_u32 v67, s0, v6, v29
	v_add_co_ci_u32_e64 v68, s0, v7, v30, s0
	v_mov_b32_e32 v32, v34
	v_lshlrev_b64 v[29:30], 3, v[37:38]
	v_mov_b32_e32 v34, v35
	v_mad_u64_u32 v[35:36], null, s20, v39, 0
	v_mad_u64_u32 v[37:38], null, s20, v92, 0
	v_add_co_u32 v69, s0, v6, v29
	v_add_co_ci_u32_e64 v70, s0, v7, v30, s0
	v_mov_b32_e32 v12, v36
	v_lshlrev_b64 v[29:30], 3, v[31:32]
	v_lshlrev_b64 v[31:32], 3, v[33:34]
	v_mov_b32_e32 v33, v38
	v_add_nc_u32_e32 v41, 0x258, v88
	v_mad_u64_u32 v[38:39], null, s21, v39, v[12:13]
	v_add_co_u32 v71, s0, v6, v29
	v_mad_u64_u32 v[33:34], null, s21, v92, v[33:34]
	v_mad_u64_u32 v[39:40], null, s20, v41, 0
	v_mov_b32_e32 v36, v38
	v_add_co_ci_u32_e64 v72, s0, v7, v30, s0
	v_mad_u64_u32 v[29:30], null, s20, v42, 0
	v_add_co_u32 v73, s0, v6, v31
	v_mov_b32_e32 v38, v33
	v_mov_b32_e32 v12, v40
	v_add_co_ci_u32_e64 v74, s0, v7, v32, s0
	v_lshlrev_b64 v[31:32], 3, v[35:36]
	v_mad_u64_u32 v[35:36], null, s20, v43, 0
	v_lshlrev_b64 v[33:34], 3, v[37:38]
	v_mad_u64_u32 v[37:38], null, s21, v41, v[12:13]
	v_mad_u64_u32 v[41:42], null, s21, v42, v[30:31]
	v_add_nc_u32_e32 v42, 0x690, v88
	v_mov_b32_e32 v12, v36
	v_add_co_u32 v75, s0, v6, v31
	v_mov_b32_e32 v40, v37
	v_mad_u64_u32 v[37:38], null, s20, v42, 0
	v_add_co_ci_u32_e64 v76, s0, v7, v32, s0
	v_mad_u64_u32 v[31:32], null, s21, v43, v[12:13]
	v_add_co_u32 v77, s0, v6, v33
	v_lshlrev_b64 v[32:33], 3, v[39:40]
	v_mov_b32_e32 v30, v41
	v_mov_b32_e32 v12, v38
	v_add_nc_u32_e32 v39, 0x7f8, v88
	v_mov_b32_e32 v36, v31
	v_add_co_ci_u32_e64 v78, s0, v7, v34, s0
	v_lshlrev_b64 v[29:30], 3, v[29:30]
	v_add_co_u32 v79, s0, v6, v32
	v_mad_u64_u32 v[31:32], null, s21, v42, v[12:13]
	v_add_co_ci_u32_e64 v80, s0, v7, v33, s0
	v_mad_u64_u32 v[32:33], null, s20, v39, 0
	v_lshlrev_b64 v[34:35], 3, v[35:36]
	v_add_nc_u32_e32 v36, 0x960, v88
	v_add_co_u32 v81, s0, v6, v29
	v_add_co_ci_u32_e64 v82, s0, v7, v30, s0
	v_mad_u64_u32 v[29:30], null, s20, v36, 0
	v_mov_b32_e32 v12, v33
	v_add_nc_u32_e32 v42, 0xac8, v88
	v_add_co_u32 v83, s0, v6, v34
	v_add_co_ci_u32_e64 v84, s0, v7, v35, s0
	v_mad_u64_u32 v[39:40], null, s21, v39, v[12:13]
	v_mad_u64_u32 v[40:41], null, s20, v42, 0
	v_mov_b32_e32 v12, v30
	v_mov_b32_e32 v38, v31
	v_add_nc_u32_e32 v44, 0xd98, v88
	v_mov_b32_e32 v33, v39
	v_mad_u64_u32 v[35:36], null, s21, v36, v[12:13]
	v_mov_b32_e32 v34, v41
	v_add_nc_u32_e32 v39, 0xc30, v88
	v_lshlrev_b64 v[30:31], 3, v[37:38]
	v_mad_u64_u32 v[36:37], null, s21, v42, v[34:35]
	v_mad_u64_u32 v[37:38], null, s20, v39, 0
	;; [unrolled: 1-line block ×3, first 2 shown]
	v_add_co_u32 v85, s0, v6, v30
	v_mov_b32_e32 v30, v35
	v_add_co_ci_u32_e64 v86, s0, v7, v31, s0
	v_mov_b32_e32 v12, v38
	v_lshlrev_b64 v[31:32], 3, v[32:33]
	v_mov_b32_e32 v33, v43
	v_mov_b32_e32 v41, v36
	v_lshlrev_b64 v[29:30], 3, v[29:30]
	v_mad_u64_u32 v[34:35], null, s21, v39, v[12:13]
	v_add_co_u32 v93, s0, v6, v31
	v_add_co_ci_u32_e64 v94, s0, v7, v32, s0
	v_lshlrev_b64 v[31:32], 3, v[40:41]
	v_add_co_u32 v95, s0, v6, v29
	v_mad_u64_u32 v[35:36], null, s21, v44, v[33:34]
	v_mov_b32_e32 v38, v34
	v_add_co_ci_u32_e64 v96, s0, v7, v30, s0
	v_add_co_u32 v97, s0, v6, v31
	v_lshlrev_b64 v[29:30], 3, v[37:38]
	v_mov_b32_e32 v43, v35
	v_add_co_ci_u32_e64 v98, s0, v7, v32, s0
	v_lshlrev_b64 v[31:32], 3, v[42:43]
	v_add_co_u32 v99, s0, v6, v29
	v_add_co_ci_u32_e64 v100, s0, v7, v30, s0
	v_add_co_u32 v6, s0, v6, v31
	v_add_co_ci_u32_e64 v7, s0, v7, v32, s0
	s_clause 0x1d
	global_load_dwordx2 v[34:35], v[0:1], off
	global_load_dwordx2 v[38:39], v[2:3], off
	;; [unrolled: 1-line block ×30, first 2 shown]
.LBB0_13:
	s_or_b32 exec_lo, exec_lo, s1
	s_waitcnt vmcnt(23)
	v_add_f32_e32 v62, v44, v52
	s_waitcnt vmcnt(21)
	v_add_f32_e32 v65, v42, v46
	v_add_f32_e32 v75, v46, v34
	v_sub_f32_e32 v69, v53, v45
	v_sub_f32_e32 v70, v47, v43
	v_fma_f32 v67, -0.5, v62, v34
	v_fmac_f32_e32 v34, -0.5, v65
	v_sub_f32_e32 v65, v52, v46
	v_sub_f32_e32 v66, v44, v42
	v_add_f32_e32 v72, v54, v56
	s_waitcnt vmcnt(20)
	v_add_f32_e32 v73, v40, v63
	v_fmamk_f32 v68, v69, 0xbf737871, v34
	v_fmac_f32_e32 v34, 0x3f737871, v69
	v_sub_f32_e32 v62, v46, v52
	v_sub_f32_e32 v71, v42, v44
	v_add_f32_e32 v65, v66, v65
	v_fmac_f32_e32 v68, 0x3f167918, v70
	v_sub_f32_e32 v66, v63, v56
	v_fmac_f32_e32 v34, 0xbf167918, v70
	v_sub_f32_e32 v74, v40, v54
	v_add_f32_e32 v76, v63, v38
	v_fma_f32 v78, -0.5, v72, v38
	v_fmac_f32_e32 v38, -0.5, v73
	v_sub_f32_e32 v73, v57, v55
	v_add_f32_e32 v71, v71, v62
	v_fmac_f32_e32 v68, 0x3e9e377a, v65
	v_fmac_f32_e32 v34, 0x3e9e377a, v65
	v_add_f32_e32 v72, v74, v66
	v_sub_f32_e32 v65, v56, v63
	v_sub_f32_e32 v66, v54, v40
	v_fmamk_f32 v62, v73, 0xbf737871, v38
	v_sub_f32_e32 v74, v64, v41
	v_fmac_f32_e32 v38, 0x3f737871, v73
	v_add_f32_e32 v77, v55, v57
	v_add_f32_e32 v80, v41, v64
	;; [unrolled: 1-line block ×3, first 2 shown]
	v_fmac_f32_e32 v62, 0x3f167918, v74
	v_fmac_f32_e32 v38, 0xbf167918, v74
	v_fma_f32 v79, -0.5, v77, v39
	v_add_f32_e32 v65, v64, v39
	v_fmac_f32_e32 v39, -0.5, v80
	v_sub_f32_e32 v77, v56, v54
	v_fmac_f32_e32 v62, 0x3e9e377a, v66
	v_sub_f32_e32 v80, v63, v40
	v_sub_f32_e32 v81, v57, v64
	;; [unrolled: 1-line block ×3, first 2 shown]
	v_fmamk_f32 v63, v77, 0x3f737871, v39
	v_fmac_f32_e32 v39, 0xbf737871, v77
	v_sub_f32_e32 v64, v64, v57
	v_sub_f32_e32 v83, v41, v55
	v_fmac_f32_e32 v38, 0x3e9e377a, v66
	v_fmamk_f32 v66, v74, 0x3f737871, v78
	v_add_f32_e32 v81, v82, v81
	v_fmac_f32_e32 v63, 0xbf167918, v80
	v_fmac_f32_e32 v39, 0x3f167918, v80
	v_add_f32_e32 v82, v83, v64
	v_add_f32_e32 v75, v52, v75
	v_fmamk_f32 v64, v80, 0xbf737871, v79
	v_fmac_f32_e32 v66, 0x3f167918, v73
	v_fmac_f32_e32 v78, 0xbf737871, v74
	;; [unrolled: 1-line block ×4, first 2 shown]
	v_fmamk_f32 v81, v70, 0x3f737871, v67
	v_add_f32_e32 v56, v56, v76
	v_add_f32_e32 v75, v44, v75
	v_fmac_f32_e32 v64, 0xbf167918, v77
	v_fmac_f32_e32 v66, 0x3e9e377a, v72
	;; [unrolled: 1-line block ×5, first 2 shown]
	v_add_f32_e32 v54, v54, v56
	v_add_f32_e32 v56, v42, v75
	v_fmac_f32_e32 v64, 0x3e9e377a, v82
	v_mul_f32_e32 v83, 0x3f4f1bbd, v66
	v_mul_f32_e32 v84, 0x3e9e377a, v62
	;; [unrolled: 1-line block ×3, first 2 shown]
	v_fmac_f32_e32 v67, 0xbf737871, v70
	v_fmac_f32_e32 v79, 0x3f167918, v77
	v_fmac_f32_e32 v78, 0x3e9e377a, v72
	v_fmac_f32_e32 v81, 0x3e9e377a, v71
	v_add_f32_e32 v54, v40, v54
	v_fmac_f32_e32 v83, 0x3f167918, v64
	v_fmac_f32_e32 v84, 0x3f737871, v63
	v_fma_f32 v85, 0x3f737871, v39, -v75
	v_mul_u32_u24_e32 v40, 10, v88
	v_fmac_f32_e32 v67, 0xbf167918, v69
	v_fmac_f32_e32 v79, 0x3e9e377a, v82
	v_mul_f32_e32 v70, 0x3f4f1bbd, v78
	v_add_f32_e32 v74, v54, v56
	v_add_f32_e32 v75, v81, v83
	;; [unrolled: 1-line block ×4, first 2 shown]
	v_lshl_add_u32 v40, v40, 2, 0
	v_fmac_f32_e32 v67, 0x3e9e377a, v71
	v_fma_f32 v73, 0x3f167918, v79, -v70
	v_sub_f32_e32 v69, v81, v83
	v_sub_f32_e32 v70, v68, v84
	ds_write2_b64 v40, v[74:75], v[76:77] offset1:1
	s_waitcnt vmcnt(13)
	v_add_f32_e32 v74, v26, v30
	s_waitcnt vmcnt(11)
	v_add_f32_e32 v68, v24, v28
	v_sub_f32_e32 v72, v56, v54
	v_add_f32_e32 v71, v67, v73
	v_add_f32_e32 v56, v28, v16
	v_fma_f32 v54, -0.5, v74, v16
	v_fmac_f32_e32 v16, -0.5, v68
	v_sub_f32_e32 v74, v31, v27
	ds_write2_b64 v40, v[71:72], v[69:70] offset0:2 offset1:3
	v_sub_f32_e32 v69, v28, v30
	v_sub_f32_e32 v70, v30, v28
	;; [unrolled: 1-line block ×4, first 2 shown]
	v_fmamk_f32 v72, v74, 0xbf737871, v16
	v_sub_f32_e32 v75, v29, v25
	v_sub_f32_e32 v68, v67, v73
	v_fmac_f32_e32 v16, 0x3f737871, v74
	v_add_f32_e32 v70, v71, v70
	v_sub_f32_e32 v67, v34, v85
	v_add_f32_e32 v71, v76, v69
	v_add_f32_e32 v34, v32, v36
	s_waitcnt vmcnt(10)
	v_add_f32_e32 v69, v22, v60
	v_fmac_f32_e32 v72, 0x3f167918, v75
	v_fmac_f32_e32 v16, 0xbf167918, v75
	v_sub_f32_e32 v73, v60, v36
	v_sub_f32_e32 v76, v22, v32
	v_fma_f32 v34, -0.5, v34, v20
	v_add_f32_e32 v77, v60, v20
	v_fmac_f32_e32 v20, -0.5, v69
	v_sub_f32_e32 v69, v37, v33
	v_fmac_f32_e32 v72, 0x3e9e377a, v70
	v_fmac_f32_e32 v16, 0x3e9e377a, v70
	v_add_f32_e32 v70, v76, v73
	v_sub_f32_e32 v73, v36, v60
	v_sub_f32_e32 v76, v32, v22
	v_fmamk_f32 v80, v69, 0xbf737871, v20
	v_sub_f32_e32 v81, v61, v23
	v_fmac_f32_e32 v20, 0x3f737871, v69
	v_add_f32_e32 v82, v33, v37
	v_add_f32_e32 v73, v76, v73
	;; [unrolled: 1-line block ×3, first 2 shown]
	v_fmac_f32_e32 v80, 0x3f167918, v81
	v_fmac_f32_e32 v20, 0xbf167918, v81
	v_add_f32_e32 v83, v61, v21
	v_sub_f32_e32 v84, v60, v22
	v_sub_f32_e32 v60, v37, v61
	;; [unrolled: 1-line block ×4, first 2 shown]
	v_fma_f32 v82, -0.5, v82, v21
	v_fmac_f32_e32 v21, -0.5, v76
	v_sub_f32_e32 v76, v36, v32
	v_fmac_f32_e32 v80, 0x3e9e377a, v73
	v_fmac_f32_e32 v20, 0x3e9e377a, v73
	v_add_f32_e32 v73, v87, v61
	v_fmamk_f32 v87, v81, 0x3f737871, v34
	v_sub_f32_e32 v85, v33, v23
	v_fmamk_f32 v86, v76, 0x3f737871, v21
	v_fmac_f32_e32 v21, 0xbf737871, v76
	v_add_f32_e32 v56, v30, v56
	v_fmamk_f32 v100, v84, 0xbf737871, v82
	v_fmac_f32_e32 v87, 0x3f167918, v69
	v_fmac_f32_e32 v34, 0xbf737871, v81
	v_add_f32_e32 v60, v85, v60
	v_fmac_f32_e32 v86, 0xbf167918, v84
	v_fmac_f32_e32 v21, 0x3f167918, v84
	v_fmamk_f32 v85, v75, 0x3f737871, v54
	v_add_f32_e32 v36, v36, v77
	v_add_f32_e32 v56, v26, v56
	v_fmac_f32_e32 v100, 0xbf167918, v76
	v_fmac_f32_e32 v87, 0x3e9e377a, v70
	;; [unrolled: 1-line block ×7, first 2 shown]
	v_add_f32_e32 v32, v32, v36
	v_add_f32_e32 v36, v24, v56
	v_fmac_f32_e32 v100, 0x3e9e377a, v73
	v_mul_f32_e32 v56, 0x3f4f1bbd, v87
	v_mul_f32_e32 v77, 0x3e9e377a, v80
	;; [unrolled: 1-line block ×3, first 2 shown]
	v_fmac_f32_e32 v54, 0xbf737871, v75
	v_fmac_f32_e32 v82, 0x3f167918, v76
	;; [unrolled: 1-line block ×4, first 2 shown]
	v_add_f32_e32 v22, v22, v32
	v_fmac_f32_e32 v56, 0x3f167918, v100
	v_fmac_f32_e32 v77, 0x3f737871, v86
	v_fma_f32 v32, 0x3f737871, v21, -v60
	v_mul_i32_i24_e32 v81, 10, v90
	v_fmac_f32_e32 v54, 0xbf167918, v74
	v_fmac_f32_e32 v82, 0x3e9e377a, v73
	v_mul_f32_e32 v73, 0x3f4f1bbd, v34
	v_add_f32_e32 v60, v22, v36
	v_add_f32_e32 v61, v85, v56
	;; [unrolled: 1-line block ×4, first 2 shown]
	v_lshl_add_u32 v93, v81, 2, 0
	ds_write_b64 v40, v[67:68] offset:32
	ds_write2_b64 v93, v[60:61], v[69:70] offset1:1
	v_sub_f32_e32 v60, v85, v56
	v_fmac_f32_e32 v54, 0x3e9e377a, v71
	v_fma_f32 v56, 0x3f167918, v82, -v73
	s_waitcnt vmcnt(3)
	v_add_f32_e32 v69, v8, v12
	s_waitcnt vmcnt(1)
	v_add_f32_e32 v70, v4, v10
	v_sub_f32_e32 v61, v72, v77
	v_sub_f32_e32 v68, v36, v22
	v_add_f32_e32 v67, v54, v56
	v_fma_f32 v22, -0.5, v69, v0
	v_add_f32_e32 v36, v10, v0
	v_fmac_f32_e32 v0, -0.5, v70
	v_sub_f32_e32 v69, v13, v9
	ds_write2_b64 v93, v[67:68], v[60:61] offset0:2 offset1:3
	v_sub_f32_e32 v61, v54, v56
	v_sub_f32_e32 v54, v12, v10
	;; [unrolled: 1-line block ×3, first 2 shown]
	v_fmamk_f32 v70, v69, 0xbf737871, v0
	v_sub_f32_e32 v67, v11, v5
	v_fmac_f32_e32 v0, 0x3f737871, v69
	v_sub_f32_e32 v68, v10, v12
	v_add_f32_e32 v54, v56, v54
	v_sub_f32_e32 v71, v4, v8
	v_fmac_f32_e32 v70, 0x3f167918, v67
	v_fmac_f32_e32 v0, 0xbf167918, v67
	v_sub_f32_e32 v60, v16, v32
	v_add_f32_e32 v32, v14, v18
	s_waitcnt vmcnt(0)
	v_add_f32_e32 v56, v6, v58
	v_fmac_f32_e32 v70, 0x3e9e377a, v54
	v_fmac_f32_e32 v0, 0x3e9e377a, v54
	v_sub_f32_e32 v54, v18, v58
	v_sub_f32_e32 v73, v14, v6
	v_add_f32_e32 v16, v71, v68
	v_sub_f32_e32 v68, v58, v18
	v_sub_f32_e32 v71, v6, v14
	v_fma_f32 v32, -0.5, v32, v2
	v_add_f32_e32 v72, v58, v2
	v_fmac_f32_e32 v2, -0.5, v56
	v_sub_f32_e32 v56, v19, v15
	v_add_f32_e32 v74, v15, v19
	v_add_f32_e32 v54, v73, v54
	;; [unrolled: 1-line block ×4, first 2 shown]
	v_fmamk_f32 v81, v56, 0xbf737871, v2
	v_sub_f32_e32 v71, v59, v7
	v_fma_f32 v103, -0.5, v74, v3
	v_add_f32_e32 v105, v59, v3
	v_fmac_f32_e32 v3, -0.5, v73
	v_sub_f32_e32 v73, v18, v14
	v_fmac_f32_e32 v2, 0x3f737871, v56
	v_fmac_f32_e32 v81, 0x3f167918, v71
	v_sub_f32_e32 v58, v58, v6
	v_sub_f32_e32 v74, v19, v59
	;; [unrolled: 1-line block ×3, first 2 shown]
	v_fmamk_f32 v113, v73, 0x3f737871, v3
	v_fmac_f32_e32 v3, 0xbf737871, v73
	v_fmamk_f32 v116, v71, 0x3f737871, v32
	v_add_f32_e32 v18, v18, v72
	v_fmac_f32_e32 v2, 0xbf167918, v71
	v_sub_f32_e32 v59, v59, v19
	v_sub_f32_e32 v76, v7, v15
	v_add_f32_e32 v74, v75, v74
	v_fmac_f32_e32 v113, 0xbf167918, v58
	v_fmac_f32_e32 v81, 0x3e9e377a, v54
	;; [unrolled: 1-line block ×3, first 2 shown]
	v_add_f32_e32 v36, v12, v36
	v_fmamk_f32 v119, v58, 0xbf737871, v103
	v_fmac_f32_e32 v116, 0x3f167918, v56
	v_add_f32_e32 v14, v14, v18
	v_fmac_f32_e32 v2, 0x3e9e377a, v54
	v_add_f32_e32 v54, v76, v59
	v_fmac_f32_e32 v113, 0x3e9e377a, v74
	v_fmac_f32_e32 v3, 0x3e9e377a, v74
	v_fmamk_f32 v74, v67, 0x3f737871, v22
	v_add_f32_e32 v36, v8, v36
	v_fmac_f32_e32 v119, 0xbf167918, v73
	v_fmac_f32_e32 v116, 0x3e9e377a, v68
	v_add_f32_e32 v6, v6, v14
	v_mul_f32_e32 v14, 0x3e9e377a, v81
	v_fmac_f32_e32 v74, 0x3f167918, v69
	v_add_f32_e32 v18, v4, v36
	v_fmac_f32_e32 v119, 0x3e9e377a, v54
	v_mul_f32_e32 v36, 0x3f4f1bbd, v116
	v_fmac_f32_e32 v32, 0xbf737871, v71
	v_fmac_f32_e32 v14, 0x3f737871, v113
	;; [unrolled: 1-line block ×4, first 2 shown]
	v_mul_f32_e32 v59, 0x3e9e377a, v2
	v_fmac_f32_e32 v36, 0x3f167918, v119
	v_fmac_f32_e32 v103, 0x3f737871, v58
	;; [unrolled: 1-line block ×3, first 2 shown]
	v_add_f32_e32 v58, v6, v18
	v_fmac_f32_e32 v22, 0xbf167918, v69
	v_mul_i32_i24_e32 v69, 10, v92
	v_add_f32_e32 v67, v70, v14
	v_sub_f32_e32 v70, v70, v14
	v_sub_f32_e32 v72, v18, v6
	v_add_f32_e32 v14, v47, v35
	v_add_f32_e32 v18, v45, v53
	v_sub_f32_e32 v46, v46, v42
	v_add_f32_e32 v42, v43, v47
	v_fma_f32 v56, 0x3f737871, v3, -v59
	v_fmac_f32_e32 v103, 0x3f167918, v73
	v_fmac_f32_e32 v32, 0x3e9e377a, v68
	v_add_f32_e32 v59, v74, v36
	v_lshl_add_u32 v94, v69, 2, 0
	v_sub_f32_e32 v69, v74, v36
	v_add_f32_e32 v6, v57, v65
	v_add_f32_e32 v14, v53, v14
	v_sub_f32_e32 v36, v52, v44
	v_fma_f32 v18, -0.5, v18, v35
	v_fmac_f32_e32 v35, -0.5, v42
	v_fmac_f32_e32 v103, 0x3e9e377a, v54
	v_mul_f32_e32 v54, 0x3f4f1bbd, v32
	v_add_f32_e32 v6, v55, v6
	v_sub_f32_e32 v44, v47, v53
	v_sub_f32_e32 v52, v53, v47
	v_add_f32_e32 v14, v45, v14
	v_sub_f32_e32 v47, v43, v45
	v_sub_f32_e32 v45, v45, v43
	v_fmamk_f32 v120, v46, 0xbf737871, v18
	v_fmamk_f32 v121, v36, 0x3f737871, v35
	v_fmac_f32_e32 v35, 0xbf737871, v36
	v_fmac_f32_e32 v22, 0x3e9e377a, v16
	v_fma_f32 v16, 0x3f167918, v103, -v54
	v_mul_f32_e32 v39, 0x3e9e377a, v39
	v_add_f32_e32 v6, v41, v6
	v_add_f32_e32 v44, v47, v44
	v_mul_f32_e32 v47, 0xbf167918, v66
	v_add_f32_e32 v41, v45, v52
	v_mul_f32_e32 v45, 0xbf737871, v62
	v_fmac_f32_e32 v120, 0xbf167918, v36
	v_fmac_f32_e32 v121, 0xbf167918, v46
	;; [unrolled: 1-line block ×3, first 2 shown]
	v_add_f32_e32 v14, v43, v14
	v_fma_f32 v43, 0xbf737871, v38, -v39
	v_fmac_f32_e32 v47, 0x3f4f1bbd, v64
	v_fmac_f32_e32 v45, 0x3e9e377a, v63
	v_sub_f32_e32 v39, v22, v16
	v_sub_f32_e32 v38, v0, v56
	v_fmac_f32_e32 v120, 0x3e9e377a, v44
	v_fmac_f32_e32 v121, 0x3e9e377a, v41
	;; [unrolled: 1-line block ×3, first 2 shown]
	v_mad_i32_i24 v95, 0xffffffdc, v88, v40
	v_fmac_f32_e32 v18, 0x3f737871, v46
	v_add_f32_e32 v68, v0, v56
	v_add_f32_e32 v71, v22, v16
	ds_write_b64 v93, v[60:61] offset:32
	ds_write2_b64 v94, v[58:59], v[67:68] offset1:1
	ds_write2_b64 v94, v[71:72], v[69:70] offset0:2 offset1:3
	ds_write_b64 v94, v[38:39] offset:32
	v_add_f32_e32 v38, v6, v14
	v_add_f32_e32 v39, v120, v47
	v_add_f32_e32 v41, v121, v45
	v_add_f32_e32 v42, v35, v43
	v_add_nc_u32_e32 v109, 0x2800, v95
	v_fmac_f32_e32 v18, 0x3f167918, v36
	v_mul_f32_e32 v0, 0x3f4f1bbd, v79
	v_lshl_add_u32 v96, v89, 2, 0
	v_add_nc_u32_e32 v107, 0x3400, v95
	v_mad_i32_i24 v98, 0xffffffdc, v90, v93
	v_mad_i32_i24 v99, 0xffffffdc, v92, v94
	v_add_nc_u32_e32 v84, 0xa00, v95
	s_load_dwordx2 s[4:5], s[4:5], 0x0
	s_waitcnt lgkmcnt(0)
	s_barrier
	buffer_gl0_inv
	v_add_nc_u32_e32 v115, 0xe00, v95
	v_add_nc_u32_e32 v114, 0x1600, v95
	;; [unrolled: 1-line block ×10, first 2 shown]
	ds_read_b32 v104, v95
	ds_read_b32 v118, v96
	;; [unrolled: 1-line block ×4, first 2 shown]
	ds_read2_b32 v[76:77], v84 offset0:80 offset1:200
	ds_read2_b32 v[72:73], v115 offset0:64 offset1:184
	;; [unrolled: 1-line block ×13, first 2 shown]
	s_waitcnt lgkmcnt(0)
	s_barrier
	buffer_gl0_inv
	ds_write2_b64 v40, v[38:39], v[41:42] offset1:1
	v_fmac_f32_e32 v18, 0x3e9e377a, v44
	v_fma_f32 v0, 0xbf167918, v78, -v0
	v_sub_f32_e32 v42, v14, v6
	v_add_f32_e32 v6, v37, v83
	v_add_f32_e32 v14, v29, v17
	v_sub_f32_e32 v16, v30, v26
	v_add_f32_e32 v41, v18, v0
	v_sub_f32_e32 v36, v18, v0
	v_add_f32_e32 v0, v33, v6
	v_add_f32_e32 v6, v31, v14
	;; [unrolled: 1-line block ×4, first 2 shown]
	v_sub_f32_e32 v18, v29, v31
	v_sub_f32_e32 v24, v28, v24
	v_sub_f32_e32 v28, v25, v27
	v_fma_f32 v14, -0.5, v14, v17
	v_fmac_f32_e32 v17, -0.5, v26
	v_sub_f32_e32 v22, v31, v29
	v_add_f32_e32 v6, v27, v6
	v_sub_f32_e32 v27, v27, v25
	v_mul_f32_e32 v21, 0x3e9e377a, v21
	v_add_f32_e32 v18, v28, v18
	v_fmamk_f32 v26, v24, 0xbf737871, v14
	v_fmamk_f32 v28, v16, 0x3f737871, v17
	v_fmac_f32_e32 v17, 0xbf737871, v16
	v_add_f32_e32 v6, v25, v6
	v_fma_f32 v25, 0xbf737871, v20, -v21
	v_add_f32_e32 v20, v27, v22
	v_mul_f32_e32 v27, 0xbf167918, v87
	v_fmac_f32_e32 v26, 0xbf167918, v16
	v_fmac_f32_e32 v28, 0xbf167918, v24
	v_mul_f32_e32 v29, 0xbf737871, v80
	v_fmac_f32_e32 v17, 0x3f167918, v24
	v_add_f32_e32 v0, v23, v0
	v_fmac_f32_e32 v27, 0x3f4f1bbd, v100
	v_fmac_f32_e32 v26, 0x3e9e377a, v18
	;; [unrolled: 1-line block ×6, first 2 shown]
	v_sub_f32_e32 v38, v120, v47
	v_sub_f32_e32 v39, v121, v45
	v_add_f32_e32 v20, v0, v6
	v_add_f32_e32 v21, v26, v27
	;; [unrolled: 1-line block ×4, first 2 shown]
	v_fmac_f32_e32 v14, 0x3f167918, v16
	v_mul_f32_e32 v16, 0x3f4f1bbd, v82
	v_sub_f32_e32 v35, v35, v43
	ds_write2_b64 v40, v[41:42], v[38:39] offset0:2 offset1:3
	ds_write_b64 v40, v[35:36] offset:32
	ds_write2_b64 v93, v[20:21], v[22:23] offset1:1
	v_fmac_f32_e32 v14, 0x3e9e377a, v18
	v_fma_f32 v22, 0xbf167918, v34, -v16
	v_add_f32_e32 v24, v11, v1
	v_add_f32_e32 v23, v19, v105
	v_sub_f32_e32 v16, v17, v25
	v_sub_f32_e32 v19, v6, v0
	v_add_f32_e32 v18, v14, v22
	v_sub_f32_e32 v17, v14, v22
	v_add_f32_e32 v6, v13, v24
	v_add_f32_e32 v14, v9, v13
	v_sub_f32_e32 v4, v10, v4
	v_add_f32_e32 v0, v15, v23
	v_sub_f32_e32 v8, v12, v8
	v_add_f32_e32 v6, v9, v6
	v_fma_f32 v14, -0.5, v14, v1
	v_sub_f32_e32 v12, v11, v13
	v_sub_f32_e32 v13, v13, v11
	v_add_f32_e32 v10, v5, v11
	v_sub_f32_e32 v11, v5, v9
	v_sub_f32_e32 v9, v9, v5
	v_add_f32_e32 v15, v5, v6
	v_fmamk_f32 v5, v4, 0xbf737871, v14
	v_fmac_f32_e32 v14, 0x3f737871, v4
	v_fmac_f32_e32 v1, -0.5, v10
	v_add_f32_e32 v6, v11, v12
	v_add_f32_e32 v0, v7, v0
	v_fmac_f32_e32 v5, 0xbf167918, v8
	v_fmac_f32_e32 v14, 0x3f167918, v8
	v_fmamk_f32 v7, v8, 0x3f737871, v1
	v_fmac_f32_e32 v1, 0xbf737871, v8
	v_add_f32_e32 v8, v9, v13
	v_fmac_f32_e32 v5, 0x3e9e377a, v6
	v_fmac_f32_e32 v14, 0x3e9e377a, v6
	v_and_b32_e32 v6, 0xff, v88
	v_fmac_f32_e32 v7, 0xbf167918, v4
	v_fmac_f32_e32 v1, 0x3f167918, v4
	v_mul_f32_e32 v4, 0xbf167918, v116
	v_mul_f32_e32 v3, 0x3e9e377a, v3
	v_mul_lo_u16 v6, 0xcd, v6
	v_fmac_f32_e32 v7, 0x3e9e377a, v8
	v_fmac_f32_e32 v1, 0x3e9e377a, v8
	v_mul_f32_e32 v8, 0xbf737871, v81
	v_mul_f32_e32 v9, 0x3f4f1bbd, v103
	v_lshrrev_b16 v120, 11, v6
	v_and_b32_e32 v100, 0xff, v90
	v_fmac_f32_e32 v4, 0x3f4f1bbd, v119
	v_fma_f32 v10, 0xbf737871, v2, -v3
	v_fmac_f32_e32 v8, 0x3e9e377a, v113
	v_mul_lo_u16 v11, v120, 10
	v_fma_f32 v12, 0xbf167918, v32, -v9
	v_mul_lo_u16 v13, 0xcd, v100
	v_sub_f32_e32 v20, v26, v27
	v_sub_f32_e32 v21, v28, v29
	v_add_f32_e32 v2, v0, v15
	v_add_f32_e32 v3, v5, v4
	v_sub_f32_e32 v4, v5, v4
	v_sub_f32_e32 v5, v7, v8
	v_add_f32_e32 v6, v7, v8
	v_add_f32_e32 v7, v1, v10
	v_sub_f32_e32 v9, v15, v0
	v_sub_nc_u16 v122, v88, v11
	v_mov_b32_e32 v11, 9
	v_add_f32_e32 v8, v14, v12
	v_sub_f32_e32 v0, v1, v10
	v_sub_f32_e32 v1, v14, v12
	v_lshrrev_b16 v119, 11, v13
	v_mov_b32_e32 v12, 0xcccd
	ds_write2_b64 v93, v[18:19], v[20:21] offset0:2 offset1:3
	v_mul_u32_u24_sdwa v10, v122, v11 dst_sel:DWORD dst_unused:UNUSED_PAD src0_sel:BYTE_0 src1_sel:DWORD
	ds_write_b64 v93, v[16:17] offset:32
	ds_write2_b64 v94, v[2:3], v[6:7] offset1:1
	ds_write2_b64 v94, v[8:9], v[4:5] offset0:2 offset1:3
	v_mul_lo_u16 v2, v119, 10
	v_mul_u32_u24_sdwa v3, v92, v12 dst_sel:DWORD dst_unused:UNUSED_PAD src0_sel:WORD_0 src1_sel:DWORD
	ds_write_b64 v94, v[0:1] offset:32
	v_lshlrev_b32_e32 v78, 3, v10
	s_waitcnt lgkmcnt(0)
	v_sub_nc_u16 v121, v90, v2
	v_lshrrev_b32_e32 v113, 19, v3
	s_barrier
	buffer_gl0_inv
	global_load_dwordx4 v[4:7], v78, s[12:13]
	v_mul_u32_u24_sdwa v1, v121, v11 dst_sel:DWORD dst_unused:UNUSED_PAD src0_sel:BYTE_0 src1_sel:DWORD
	v_mul_lo_u16 v0, v113, 10
	v_cmp_gt_u32_e64 s0, 0x64, v88
	v_lshlrev_b32_e32 v79, 3, v1
	v_sub_nc_u16 v116, v92, v0
	v_mul_u32_u24_sdwa v0, v116, v11 dst_sel:DWORD dst_unused:UNUSED_PAD src0_sel:WORD_0 src1_sel:DWORD
	global_load_dwordx4 v[8:11], v79, s[12:13]
	v_lshlrev_b32_e32 v82, 3, v0
	s_clause 0xc
	global_load_dwordx4 v[0:3], v82, s[12:13]
	global_load_dwordx4 v[20:23], v78, s[12:13] offset:16
	global_load_dwordx4 v[12:15], v79, s[12:13] offset:16
	;; [unrolled: 1-line block ×9, first 2 shown]
	global_load_dwordx2 v[80:81], v78, s[12:13] offset:64
	global_load_dwordx2 v[78:79], v79, s[12:13] offset:64
	;; [unrolled: 1-line block ×3, first 2 shown]
	ds_read_b32 v123, v96
	ds_read2_b32 v[86:87], v84 offset0:80 offset1:200
	ds_read2_b32 v[84:85], v85 offset0:96 offset1:216
	ds_read_b32 v105, v98
	ds_read_b32 v103, v99
	;; [unrolled: 1-line block ×3, first 2 shown]
	ds_read2_b32 v[127:128], v115 offset0:64 offset1:184
	s_waitcnt vmcnt(14) lgkmcnt(6)
	v_mul_f32_e32 v126, v123, v5
	v_mul_f32_e32 v125, v118, v5
	s_waitcnt lgkmcnt(5)
	v_mul_f32_e32 v5, v86, v7
	v_fma_f32 v118, v118, v4, -v126
	v_mul_f32_e32 v126, v76, v7
	v_fmac_f32_e32 v125, v123, v4
	v_fma_f32 v4, v76, v6, -v5
	s_waitcnt vmcnt(12)
	v_mul_f32_e32 v76, v75, v1
	v_fmac_f32_e32 v126, v86, v6
	ds_read2_b32 v[6:7], v114 offset0:32 offset1:152
	v_mul_f32_e32 v5, v87, v11
	v_mul_f32_e32 v86, v77, v11
	s_waitcnt lgkmcnt(5)
	v_mul_f32_e32 v11, v85, v1
	v_fmac_f32_e32 v76, v85, v0
	v_fma_f32 v114, v77, v10, -v5
	v_mul_f32_e32 v5, v84, v9
	v_fmac_f32_e32 v86, v87, v10
	v_mul_f32_e32 v77, v74, v9
	ds_read2_b32 v[9:10], v117 offset0:48 offset1:168
	v_fma_f32 v1, v75, v0, -v11
	v_fma_f32 v74, v74, v8, -v5
	s_waitcnt lgkmcnt(2)
	v_mul_f32_e32 v5, v127, v3
	v_fmac_f32_e32 v77, v84, v8
	v_mul_f32_e32 v0, v72, v3
	s_waitcnt vmcnt(11)
	v_mul_f32_e32 v87, v73, v21
	ds_read2_b32 v[84:85], v112 offset0:16 offset1:136
	v_fma_f32 v72, v72, v2, -v5
	v_mul_f32_e32 v5, v128, v21
	s_waitcnt lgkmcnt(2)
	v_mul_f32_e32 v8, v6, v23
	v_mul_f32_e32 v3, v70, v23
	v_fmac_f32_e32 v87, v128, v20
	v_fmac_f32_e32 v0, v127, v2
	v_fma_f32 v23, v73, v20, -v5
	ds_read2_b32 v[20:21], v111 offset0:112 offset1:232
	v_fma_f32 v5, v70, v22, -v8
	s_waitcnt vmcnt(10)
	v_mul_f32_e32 v2, v7, v15
	v_mul_f32_e32 v70, v71, v15
	v_fmac_f32_e32 v3, v6, v22
	s_waitcnt lgkmcnt(2)
	v_mul_f32_e32 v6, v9, v13
	v_mul_f32_e32 v22, v68, v13
	v_fma_f32 v71, v71, v14, -v2
	v_fmac_f32_e32 v70, v7, v14
	ds_read2_b32 v[13:14], v97 offset0:128 offset1:248
	s_waitcnt vmcnt(9)
	v_mul_f32_e32 v112, v69, v17
	v_mul_f32_e32 v2, v10, v17
	s_waitcnt vmcnt(8) lgkmcnt(2)
	v_mul_f32_e32 v7, v85, v25
	v_fma_f32 v111, v68, v12, -v6
	v_mul_f32_e32 v68, v66, v19
	v_fmac_f32_e32 v112, v10, v16
	ds_read2_b32 v[10:11], v110 offset0:96 offset1:216
	v_fma_f32 v115, v69, v16, -v2
	v_mul_f32_e32 v2, v84, v19
	v_mul_f32_e32 v6, v67, v25
	v_fma_f32 v25, v67, v24, -v7
	s_waitcnt lgkmcnt(2)
	v_mul_f32_e32 v7, v20, v27
	s_waitcnt vmcnt(7)
	v_mul_f32_e32 v8, v21, v31
	ds_read2_b32 v[15:16], v108 offset0:64 offset1:184
	v_fma_f32 v66, v66, v18, -v2
	v_fmac_f32_e32 v68, v84, v18
	v_mul_f32_e32 v2, v64, v27
	v_mul_f32_e32 v67, v65, v31
	v_fma_f32 v7, v64, v26, -v7
	v_fma_f32 v64, v65, v30, -v8
	v_mul_f32_e32 v65, v62, v29
	ds_read2_b32 v[17:18], v109 offset0:80 offset1:200
	v_fmac_f32_e32 v22, v9, v12
	s_waitcnt lgkmcnt(3)
	v_mul_f32_e32 v9, v13, v29
	s_waitcnt vmcnt(6)
	v_mul_f32_e32 v8, v14, v33
	v_fmac_f32_e32 v65, v13, v28
	ds_read2_b32 v[12:13], v106 offset0:48 offset1:168
	v_fmac_f32_e32 v6, v85, v24
	v_fmac_f32_e32 v2, v20, v26
	v_fmac_f32_e32 v67, v21, v30
	v_fma_f32 v21, v62, v28, -v9
	v_mul_f32_e32 v62, v63, v33
	s_waitcnt lgkmcnt(3)
	v_mul_f32_e32 v9, v10, v35
	v_fma_f32 v24, v63, v32, -v8
	s_waitcnt vmcnt(5)
	v_mul_f32_e32 v8, v59, v37
	ds_read2_b32 v[19:20], v107 offset0:32 offset1:152
	v_mul_f32_e32 v63, v58, v35
	v_fmac_f32_e32 v62, v14, v32
	v_fma_f32 v58, v58, v34, -v9
	v_mul_f32_e32 v9, v11, v37
	s_waitcnt lgkmcnt(3)
	v_mul_f32_e32 v14, v15, v39
	v_fmac_f32_e32 v8, v11, v36
	s_waitcnt vmcnt(4)
	v_mul_f32_e32 v11, v16, v43
	v_fmac_f32_e32 v63, v10, v34
	v_mul_f32_e32 v10, v56, v39
	v_fma_f32 v26, v59, v36, -v9
	v_fma_f32 v9, v56, v38, -v14
	v_mul_f32_e32 v56, v57, v43
	v_mul_f32_e32 v59, v60, v41
	v_fma_f32 v57, v57, v42, -v11
	s_waitcnt vmcnt(3) lgkmcnt(2)
	v_mul_f32_e32 v11, v18, v45
	v_mul_f32_e32 v14, v17, v41
	v_fmac_f32_e32 v10, v15, v38
	v_fmac_f32_e32 v56, v16, v42
	;; [unrolled: 1-line block ×3, first 2 shown]
	s_waitcnt lgkmcnt(1)
	v_mul_f32_e32 v15, v12, v47
	v_mul_f32_e32 v47, v52, v47
	s_waitcnt vmcnt(2)
	v_mul_f32_e32 v16, v13, v81
	v_fma_f32 v17, v61, v44, -v11
	v_mul_f32_e32 v11, v53, v81
	v_mul_f32_e32 v45, v61, v45
	v_fma_f32 v52, v52, v46, -v15
	v_fmac_f32_e32 v47, v12, v46
	v_fma_f32 v12, v53, v80, -v16
	s_waitcnt vmcnt(1) lgkmcnt(0)
	v_mul_f32_e32 v15, v19, v79
	v_mul_f32_e32 v53, v54, v79
	s_waitcnt vmcnt(0)
	v_mul_f32_e32 v16, v20, v83
	v_mul_f32_e32 v46, v55, v83
	v_fmac_f32_e32 v11, v13, v80
	v_fmac_f32_e32 v45, v18, v44
	v_fma_f32 v13, v54, v78, -v15
	v_fmac_f32_e32 v53, v19, v78
	v_fma_f32 v15, v55, v82, -v16
	v_fmac_f32_e32 v46, v20, v82
	v_sub_f32_e32 v16, v4, v5
	v_sub_f32_e32 v18, v9, v7
	;; [unrolled: 1-line block ×3, first 2 shown]
	v_mov_b32_e32 v20, 0x190
	v_mov_b32_e32 v38, 2
	v_sub_f32_e32 v27, v12, v26
	v_sub_f32_e32 v28, v87, v6
	v_sub_f32_e32 v29, v11, v8
	v_add_f32_e32 v34, v118, v23
	v_mul_u32_u24_sdwa v30, v120, v20 dst_sel:DWORD dst_unused:UNUSED_PAD src0_sel:WORD_0 src1_sel:DWORD
	v_lshlrev_b32_sdwa v31, v38, v122 dst_sel:DWORD dst_unused:UNUSED_PAD src0_sel:DWORD src1_sel:BYTE_0
	v_add_f32_e32 v16, v16, v18
	v_add_f32_e32 v18, v19, v27
	;; [unrolled: 1-line block ×7, first 2 shown]
	v_add3_u32 v54, 0, v30, v31
	v_add_f32_e32 v28, v104, v4
	v_add_f32_e32 v30, v25, v26
	v_fma_f32 v61, -0.5, v27, v125
	v_sub_f32_e32 v27, v23, v12
	v_fma_f32 v29, -0.5, v29, v104
	v_sub_f32_e32 v32, v25, v26
	v_add_f32_e32 v34, v34, v26
	v_fmac_f32_e32 v104, -0.5, v41
	v_add_f32_e32 v41, v23, v12
	v_sub_f32_e32 v23, v25, v23
	v_add_f32_e32 v25, v87, v11
	v_fma_f32 v14, v60, v40, -v14
	v_fma_f32 v60, -0.5, v30, v118
	v_sub_f32_e32 v36, v6, v8
	v_add_f32_e32 v34, v34, v12
	v_fmac_f32_e32 v118, -0.5, v41
	v_sub_f32_e32 v12, v26, v12
	v_add_f32_e32 v26, v125, v87
	v_fmac_f32_e32 v125, -0.5, v25
	v_sub_f32_e32 v30, v87, v11
	v_fmamk_f32 v31, v27, 0xbf737871, v61
	v_add_f32_e32 v12, v23, v12
	v_fmamk_f32 v75, v36, 0xbf737871, v118
	v_sub_f32_e32 v23, v6, v87
	v_sub_f32_e32 v25, v8, v11
	v_fmamk_f32 v73, v32, 0x3f737871, v125
	v_fmac_f32_e32 v118, 0x3f737871, v36
	v_sub_f32_e32 v33, v126, v10
	v_fmamk_f32 v35, v30, 0x3f737871, v60
	v_fmac_f32_e32 v31, 0xbf167918, v32
	v_fmac_f32_e32 v60, 0xbf737871, v30
	v_sub_f32_e32 v39, v3, v2
	v_sub_f32_e32 v42, v5, v4
	;; [unrolled: 1-line block ×3, first 2 shown]
	v_fmac_f32_e32 v125, 0xbf737871, v32
	v_add_f32_e32 v23, v23, v25
	v_fmac_f32_e32 v73, 0xbf167918, v27
	v_fmac_f32_e32 v118, 0xbf167918, v30
	v_add_f32_e32 v28, v28, v5
	v_fmamk_f32 v37, v33, 0x3f737871, v29
	v_fmac_f32_e32 v35, 0x3f167918, v36
	v_fmac_f32_e32 v31, 0x3e9e377a, v19
	;; [unrolled: 1-line block ×4, first 2 shown]
	v_add_f32_e32 v42, v42, v43
	v_fmamk_f32 v43, v39, 0xbf737871, v104
	v_fmac_f32_e32 v104, 0x3f737871, v39
	v_fmac_f32_e32 v75, 0x3f167918, v30
	;; [unrolled: 1-line block ×5, first 2 shown]
	v_add_f32_e32 v28, v28, v7
	v_fmac_f32_e32 v37, 0x3f167918, v39
	v_fmac_f32_e32 v35, 0x3e9e377a, v18
	v_mul_f32_e32 v40, 0x3f167918, v31
	v_fmac_f32_e32 v29, 0xbf737871, v33
	v_fmac_f32_e32 v61, 0x3f167918, v32
	;; [unrolled: 1-line block ×7, first 2 shown]
	v_mul_f32_e32 v12, 0x3f737871, v73
	v_mul_f32_e32 v23, 0x3e9e377a, v118
	v_add_f32_e32 v28, v28, v9
	v_fmac_f32_e32 v37, 0x3e9e377a, v16
	v_fmac_f32_e32 v40, 0x3f4f1bbd, v35
	;; [unrolled: 1-line block ×4, first 2 shown]
	v_mul_f32_e32 v19, 0x3f4f1bbd, v60
	v_fmac_f32_e32 v43, 0x3e9e377a, v42
	v_fmac_f32_e32 v104, 0x3e9e377a, v42
	;; [unrolled: 1-line block ×3, first 2 shown]
	v_fma_f32 v18, 0x3f737871, v125, -v23
	v_add_f32_e32 v41, v28, v34
	v_add_f32_e32 v23, v37, v40
	v_fmac_f32_e32 v29, 0x3e9e377a, v16
	v_fma_f32 v16, 0x3f167918, v61, -v19
	v_add_f32_e32 v25, v43, v12
	v_add_f32_e32 v27, v104, v18
	s_barrier
	buffer_gl0_inv
	ds_write2_b32 v54, v41, v23 offset1:10
	ds_write2_b32 v54, v25, v27 offset0:20 offset1:30
	v_sub_f32_e32 v19, v28, v34
	v_add_f32_e32 v23, v29, v16
	v_sub_f32_e32 v27, v114, v71
	v_sub_f32_e32 v28, v57, v64
	v_sub_f32_e32 v25, v37, v40
	v_sub_f32_e32 v12, v43, v12
	v_sub_f32_e32 v18, v104, v18
	v_sub_f32_e32 v16, v29, v16
	ds_write2_b32 v54, v23, v19 offset0:40 offset1:50
	ds_write2_b32 v54, v25, v12 offset0:60 offset1:70
	;; [unrolled: 1-line block ×3, first 2 shown]
	v_add_f32_e32 v12, v27, v28
	v_mul_u32_u24_sdwa v20, v119, v20 dst_sel:DWORD dst_unused:UNUSED_PAD src0_sel:WORD_0 src1_sel:DWORD
	v_lshlrev_b32_sdwa v23, v38, v121 dst_sel:DWORD dst_unused:UNUSED_PAD src0_sel:DWORD src1_sel:BYTE_0
	v_add_f32_e32 v27, v71, v64
	v_sub_f32_e32 v18, v22, v65
	v_sub_f32_e32 v19, v53, v59
	;; [unrolled: 1-line block ×3, first 2 shown]
	v_add3_u32 v55, 0, v20, v23
	v_fma_f32 v23, -0.5, v27, v102
	v_add_f32_e32 v27, v74, v111
	v_sub_f32_e32 v30, v13, v14
	v_add_f32_e32 v25, v102, v114
	v_add_f32_e32 v18, v18, v19
	v_add_f32_e32 v19, v65, v59
	v_add_f32_e32 v27, v27, v21
	v_add_f32_e32 v36, v114, v57
	v_sub_f32_e32 v37, v71, v114
	v_sub_f32_e32 v39, v64, v57
	v_add_f32_e32 v16, v29, v30
	v_add_f32_e32 v27, v27, v14
	v_add_f32_e32 v20, v25, v71
	v_add_f32_e32 v25, v21, v14
	v_fma_f32 v79, -0.5, v19, v77
	v_sub_f32_e32 v19, v111, v13
	v_sub_f32_e32 v29, v21, v14
	v_add_f32_e32 v27, v27, v13
	v_fmac_f32_e32 v102, -0.5, v36
	v_add_f32_e32 v36, v37, v39
	v_add_f32_e32 v37, v111, v13
	v_sub_f32_e32 v13, v14, v13
	v_add_f32_e32 v14, v22, v53
	v_fma_f32 v78, -0.5, v25, v74
	v_sub_f32_e32 v25, v22, v53
	v_sub_f32_e32 v32, v65, v59
	;; [unrolled: 1-line block ×3, first 2 shown]
	v_fmac_f32_e32 v74, -0.5, v37
	v_add_f32_e32 v83, v77, v22
	v_fmac_f32_e32 v77, -0.5, v14
	v_fmamk_f32 v80, v19, 0xbf737871, v79
	v_fmamk_f32 v81, v25, 0x3f737871, v78
	v_add_f32_e32 v13, v21, v13
	v_fmamk_f32 v82, v32, 0xbf737871, v74
	v_sub_f32_e32 v14, v65, v22
	v_sub_f32_e32 v21, v59, v53
	v_fmac_f32_e32 v74, 0x3f737871, v32
	v_fmamk_f32 v84, v29, 0x3f737871, v77
	v_fmac_f32_e32 v78, 0xbf737871, v25
	v_sub_f32_e32 v28, v86, v56
	v_fmac_f32_e32 v80, 0xbf167918, v29
	v_sub_f32_e32 v33, v70, v67
	v_add_f32_e32 v14, v14, v21
	v_fmac_f32_e32 v77, 0xbf737871, v29
	v_fmac_f32_e32 v74, 0xbf167918, v25
	;; [unrolled: 1-line block ×5, first 2 shown]
	v_fmamk_f32 v30, v28, 0x3f737871, v23
	v_fmac_f32_e32 v81, 0x3f167918, v32
	v_fmac_f32_e32 v80, 0x3e9e377a, v18
	v_fmamk_f32 v41, v33, 0xbf737871, v102
	v_fmac_f32_e32 v102, 0x3f737871, v33
	v_fmac_f32_e32 v82, 0x3f167918, v25
	;; [unrolled: 1-line block ×8, first 2 shown]
	v_add_f32_e32 v20, v20, v64
	v_fmac_f32_e32 v30, 0x3f167918, v33
	v_fmac_f32_e32 v81, 0x3e9e377a, v16
	v_mul_f32_e32 v34, 0x3f167918, v80
	v_fmac_f32_e32 v41, 0x3f167918, v28
	v_fmac_f32_e32 v102, 0xbf167918, v28
	v_fmac_f32_e32 v82, 0x3e9e377a, v13
	v_fmac_f32_e32 v77, 0x3e9e377a, v14
	v_mul_f32_e32 v13, 0x3f737871, v84
	v_mul_f32_e32 v14, 0x3e9e377a, v74
	v_fmac_f32_e32 v23, 0xbf167918, v33
	v_fmac_f32_e32 v79, 0x3e9e377a, v18
	v_mul_f32_e32 v16, 0x3f4f1bbd, v78
	v_add_f32_e32 v20, v20, v57
	v_fmac_f32_e32 v30, 0x3e9e377a, v12
	v_fmac_f32_e32 v34, 0x3f4f1bbd, v81
	;; [unrolled: 1-line block ×5, first 2 shown]
	v_fma_f32 v14, 0x3f737871, v77, -v14
	v_fmac_f32_e32 v23, 0x3e9e377a, v12
	v_fma_f32 v12, 0x3f167918, v79, -v16
	v_add_f32_e32 v40, v20, v27
	v_add_f32_e32 v39, v30, v34
	;; [unrolled: 1-line block ×4, first 2 shown]
	v_sub_f32_e32 v19, v20, v27
	v_add_f32_e32 v20, v23, v12
	v_sub_f32_e32 v21, v30, v34
	v_sub_f32_e32 v13, v41, v13
	ds_write2_b32 v55, v40, v39 offset1:10
	ds_write2_b32 v55, v16, v18 offset0:20 offset1:30
	ds_write2_b32 v55, v20, v19 offset0:40 offset1:50
	;; [unrolled: 1-line block ×3, first 2 shown]
	v_mul_u32_u24_e32 v21, 0x190, v113
	v_lshlrev_b32_sdwa v22, v38, v116 dst_sel:DWORD dst_unused:UNUSED_PAD src0_sel:DWORD src1_sel:WORD_0
	v_sub_f32_e32 v16, v72, v66
	v_sub_f32_e32 v18, v52, v58
	;; [unrolled: 1-line block ×4, first 2 shown]
	v_add3_u32 v69, 0, v21, v22
	v_add_f32_e32 v22, v1, v115
	v_sub_f32_e32 v13, v102, v14
	v_add_f32_e32 v14, v16, v18
	v_sub_f32_e32 v16, v115, v24
	v_sub_f32_e32 v18, v15, v17
	v_add_f32_e32 v19, v19, v20
	v_add_f32_e32 v20, v66, v58
	;; [unrolled: 1-line block ×7, first 2 shown]
	v_fma_f32 v20, -0.5, v20, v101
	v_add_f32_e32 v22, v22, v17
	v_fmac_f32_e32 v101, -0.5, v32
	v_sub_f32_e32 v32, v66, v72
	v_sub_f32_e32 v34, v58, v52
	;; [unrolled: 1-line block ×3, first 2 shown]
	v_add_f32_e32 v23, v24, v17
	v_fma_f32 v85, -0.5, v21, v76
	v_sub_f32_e32 v21, v115, v15
	v_sub_f32_e32 v27, v24, v17
	v_add_f32_e32 v36, v115, v15
	v_add_f32_e32 v22, v22, v15
	v_sub_f32_e32 v15, v17, v15
	v_add_f32_e32 v17, v32, v34
	v_add_f32_e32 v34, v112, v46
	v_fma_f32 v87, -0.5, v23, v1
	v_sub_f32_e32 v30, v62, v45
	v_sub_f32_e32 v24, v24, v115
	v_fmac_f32_e32 v1, -0.5, v36
	v_add_f32_e32 v106, v76, v112
	v_fmac_f32_e32 v76, -0.5, v34
	v_sub_f32_e32 v23, v112, v46
	v_fmamk_f32 v102, v21, 0xbf737871, v85
	v_add_f32_e32 v15, v24, v15
	v_sub_f32_e32 v24, v62, v112
	v_sub_f32_e32 v36, v45, v46
	v_fmamk_f32 v107, v30, 0xbf737871, v1
	v_fmac_f32_e32 v1, 0x3f737871, v30
	v_fmamk_f32 v108, v27, 0x3f737871, v76
	v_fmamk_f32 v104, v23, 0x3f737871, v87
	v_fmac_f32_e32 v87, 0xbf737871, v23
	v_sub_f32_e32 v25, v0, v47
	v_fmac_f32_e32 v102, 0xbf167918, v27
	v_sub_f32_e32 v29, v68, v63
	v_add_f32_e32 v24, v24, v36
	v_fmac_f32_e32 v1, 0xbf167918, v23
	v_fmac_f32_e32 v76, 0xbf737871, v27
	;; [unrolled: 1-line block ×5, first 2 shown]
	v_add_f32_e32 v18, v18, v66
	v_fmamk_f32 v28, v25, 0x3f737871, v20
	v_fmac_f32_e32 v104, 0x3f167918, v30
	v_fmac_f32_e32 v102, 0x3e9e377a, v19
	v_fmamk_f32 v32, v29, 0xbf737871, v101
	v_fmac_f32_e32 v101, 0x3f737871, v29
	v_fmac_f32_e32 v107, 0x3f167918, v23
	;; [unrolled: 1-line block ×8, first 2 shown]
	v_add_f32_e32 v18, v18, v58
	v_fmac_f32_e32 v28, 0x3f167918, v29
	v_fmac_f32_e32 v104, 0x3e9e377a, v16
	v_mul_f32_e32 v33, 0x3f167918, v102
	v_fmac_f32_e32 v32, 0x3f167918, v25
	v_fmac_f32_e32 v101, 0xbf167918, v25
	v_fmac_f32_e32 v107, 0x3e9e377a, v15
	v_fmac_f32_e32 v76, 0x3e9e377a, v24
	v_mul_f32_e32 v15, 0x3f737871, v108
	v_mul_f32_e32 v16, 0x3e9e377a, v1
	v_fmac_f32_e32 v20, 0xbf167918, v29
	v_fmac_f32_e32 v85, 0x3e9e377a, v19
	v_mul_f32_e32 v19, 0x3f4f1bbd, v87
	v_add_f32_e32 v18, v18, v52
	v_fmac_f32_e32 v28, 0x3e9e377a, v14
	v_fmac_f32_e32 v33, 0x3f4f1bbd, v104
	v_add_f32_e32 v6, v26, v6
	v_fmac_f32_e32 v32, 0x3e9e377a, v17
	v_fmac_f32_e32 v101, 0x3e9e377a, v17
	;; [unrolled: 1-line block ×3, first 2 shown]
	v_fma_f32 v16, 0x3f737871, v76, -v16
	v_fmac_f32_e32 v20, 0x3e9e377a, v14
	v_fma_f32 v14, 0x3f167918, v85, -v19
	v_add_f32_e32 v34, v18, v22
	v_add_f32_e32 v17, v28, v33
	v_sub_f32_e32 v110, v5, v7
	v_add_f32_e32 v5, v6, v8
	v_add_f32_e32 v19, v32, v15
	;; [unrolled: 1-line block ×3, first 2 shown]
	v_sub_f32_e32 v18, v18, v22
	v_add_f32_e32 v22, v20, v14
	v_sub_f32_e32 v23, v28, v33
	v_sub_f32_e32 v15, v32, v15
	ds_write2_b32 v55, v13, v12 offset0:80 offset1:90
	ds_write2_b32 v69, v34, v17 offset1:10
	ds_write2_b32 v69, v19, v21 offset0:20 offset1:30
	ds_write2_b32 v69, v22, v18 offset0:40 offset1:50
	;; [unrolled: 1-line block ×3, first 2 shown]
	v_add_f32_e32 v13, v3, v2
	v_add_f32_e32 v115, v5, v11
	;; [unrolled: 1-line block ×3, first 2 shown]
	v_sub_f32_e32 v12, v101, v16
	v_sub_f32_e32 v101, v4, v9
	v_add_f32_e32 v4, v124, v126
	v_fma_f32 v109, -0.5, v13, v124
	v_fmac_f32_e32 v124, -0.5, v11
	v_sub_f32_e32 v9, v126, v3
	v_sub_f32_e32 v13, v10, v2
	v_add_f32_e32 v4, v4, v3
	v_fmamk_f32 v111, v101, 0xbf737871, v109
	v_sub_f32_e32 v117, v3, v126
	v_sub_f32_e32 v119, v2, v10
	v_fmamk_f32 v120, v110, 0x3f737871, v124
	v_fmac_f32_e32 v124, 0xbf737871, v110
	v_fmac_f32_e32 v109, 0x3f737871, v101
	v_add_f32_e32 v112, v9, v13
	v_mul_f32_e32 v113, 0xbf167918, v35
	v_add_f32_e32 v4, v4, v2
	v_fmac_f32_e32 v111, 0xbf167918, v110
	v_add_f32_e32 v117, v117, v119
	v_fmac_f32_e32 v120, 0xbf167918, v101
	v_fmac_f32_e32 v124, 0x3f167918, v101
	v_mul_f32_e32 v75, 0xbf737871, v75
	v_mul_f32_e32 v101, 0x3e9e377a, v125
	v_fmac_f32_e32 v109, 0x3f167918, v110
	v_mul_f32_e32 v61, 0x3f4f1bbd, v61
	v_fmac_f32_e32 v113, 0x3f4f1bbd, v31
	v_add_f32_e32 v116, v4, v10
	v_fmac_f32_e32 v111, 0x3e9e377a, v112
	v_fmac_f32_e32 v120, 0x3e9e377a, v117
	;; [unrolled: 1-line block ×4, first 2 shown]
	v_fma_f32 v73, 0xbf737871, v118, -v101
	v_fmac_f32_e32 v109, 0x3e9e377a, v112
	v_fma_f32 v60, 0xbf167918, v60, -v61
	v_sub_f32_e32 v14, v20, v14
	v_add_nc_u32_e32 v30, 0x2e00, v95
	v_add_nc_u32_e32 v33, 0x1e00, v95
	;; [unrolled: 1-line block ×4, first 2 shown]
	v_add_f32_e32 v119, v116, v115
	v_add_f32_e32 v61, v111, v113
	v_add_nc_u32_e32 v27, 0x1400, v95
	v_add_nc_u32_e32 v36, 0x2a00, v95
	v_add_f32_e32 v101, v120, v75
	v_add_f32_e32 v110, v124, v73
	v_add_nc_u32_e32 v28, 0x2600, v95
	v_lshl_add_u32 v34, v91, 2, 0
	v_sub_f32_e32 v112, v116, v115
	v_add_f32_e32 v115, v109, v60
	v_add_nc_u32_e32 v32, 0xc00, v95
	ds_write2_b32 v69, v12, v14 offset0:80 offset1:90
	s_waitcnt lgkmcnt(0)
	s_barrier
	buffer_gl0_inv
	ds_read_b32 v43, v95
	v_add_nc_u32_e32 v26, 0x800, v95
	v_add_nc_u32_e32 v29, 0x1000, v95
	v_add_nc_u32_e32 v31, 0x2200, v95
	ds_read_b32 v41, v99
	ds_read_b32 v42, v98
	;; [unrolled: 1-line block ×4, first 2 shown]
	ds_read_b32 v44, v95 offset:13920
	ds_read2_b32 v[20:21], v26 offset0:88 offset1:208
	ds_read2_b32 v[16:17], v29 offset0:56 offset1:176
	;; [unrolled: 1-line block ×12, first 2 shown]
	s_waitcnt lgkmcnt(0)
	s_barrier
	buffer_gl0_inv
	ds_write2_b32 v54, v119, v61 offset1:10
	ds_write2_b32 v54, v101, v110 offset0:20 offset1:30
	ds_write2_b32 v54, v115, v112 offset0:40 offset1:50
	v_add_f32_e32 v101, v70, v67
	v_add_f32_e32 v65, v83, v65
	;; [unrolled: 1-line block ×3, first 2 shown]
	v_sub_f32_e32 v57, v114, v57
	v_sub_f32_e32 v60, v109, v60
	v_fma_f32 v101, -0.5, v101, v105
	v_sub_f32_e32 v64, v71, v64
	v_sub_f32_e32 v71, v86, v70
	v_add_f32_e32 v83, v83, v70
	v_sub_f32_e32 v109, v56, v67
	v_fmamk_f32 v110, v57, 0xbf737871, v101
	v_add_f32_e32 v59, v65, v59
	v_mul_f32_e32 v65, 0xbf167918, v81
	v_add_f32_e32 v81, v83, v67
	v_add_f32_e32 v71, v71, v109
	v_fmac_f32_e32 v110, 0xbf167918, v64
	v_sub_f32_e32 v61, v111, v113
	v_fmac_f32_e32 v65, 0x3f4f1bbd, v80
	v_add_f32_e32 v80, v86, v56
	v_sub_f32_e32 v75, v120, v75
	v_add_f32_e32 v53, v59, v53
	v_add_f32_e32 v59, v81, v56
	v_fmac_f32_e32 v110, 0x3e9e377a, v71
	v_fmac_f32_e32 v105, -0.5, v80
	v_sub_f32_e32 v73, v124, v73
	ds_write2_b32 v54, v61, v75 offset0:60 offset1:70
	ds_write2_b32 v54, v73, v60 offset0:80 offset1:90
	v_add_f32_e32 v54, v59, v53
	v_add_f32_e32 v60, v110, v65
	v_sub_f32_e32 v61, v70, v86
	v_sub_f32_e32 v56, v67, v56
	v_fmamk_f32 v67, v64, 0x3f737871, v105
	v_fmac_f32_e32 v101, 0x3f737871, v57
	v_fmac_f32_e32 v105, 0xbf737871, v64
	ds_write2_b32 v55, v54, v60 offset1:10
	v_add_f32_e32 v54, v61, v56
	v_fmac_f32_e32 v67, 0xbf167918, v57
	v_mul_f32_e32 v56, 0xbf737871, v82
	v_fmac_f32_e32 v101, 0x3f167918, v64
	v_fmac_f32_e32 v105, 0x3f167918, v57
	v_mul_f32_e32 v57, 0x3e9e377a, v77
	v_mul_f32_e32 v60, 0x3f4f1bbd, v79
	v_fmac_f32_e32 v67, 0x3e9e377a, v54
	v_fmac_f32_e32 v56, 0x3e9e377a, v84
	v_add_f32_e32 v64, v103, v0
	v_fmac_f32_e32 v101, 0x3e9e377a, v71
	v_fmac_f32_e32 v105, 0x3e9e377a, v54
	v_fma_f32 v54, 0xbf737871, v74, -v57
	v_fma_f32 v57, 0xbf167918, v78, -v60
	v_add_f32_e32 v60, v67, v56
	v_sub_f32_e32 v56, v67, v56
	v_sub_f32_e32 v52, v72, v52
	;; [unrolled: 1-line block ×3, first 2 shown]
	v_add_f32_e32 v64, v64, v68
	v_sub_f32_e32 v70, v47, v63
	v_add_f32_e32 v71, v68, v63
	v_add_f32_e32 v72, v0, v47
	v_sub_f32_e32 v58, v66, v58
	v_add_f32_e32 v64, v64, v63
	v_add_f32_e32 v66, v67, v70
	v_fma_f32 v67, -0.5, v71, v103
	v_fmac_f32_e32 v103, -0.5, v72
	v_add_f32_e32 v62, v106, v62
	v_sub_f32_e32 v0, v68, v0
	v_add_f32_e32 v64, v64, v47
	v_sub_f32_e32 v47, v63, v47
	v_fmamk_f32 v63, v52, 0xbf737871, v67
	v_fmac_f32_e32 v67, 0x3f737871, v52
	v_fmamk_f32 v68, v58, 0x3f737871, v103
	v_fmac_f32_e32 v103, 0xbf737871, v58
	v_add_f32_e32 v45, v62, v45
	v_fmac_f32_e32 v63, 0xbf167918, v58
	v_fmac_f32_e32 v67, 0x3f167918, v58
	v_add_f32_e32 v0, v0, v47
	v_fmac_f32_e32 v68, 0xbf167918, v52
	v_fmac_f32_e32 v103, 0x3f167918, v52
	v_mul_f32_e32 v52, 0x3e9e377a, v76
	v_mul_f32_e32 v58, 0x3f4f1bbd, v85
	v_add_f32_e32 v45, v45, v46
	v_fmac_f32_e32 v68, 0x3e9e377a, v0
	v_fmac_f32_e32 v103, 0x3e9e377a, v0
	v_mul_f32_e32 v0, 0xbf167918, v104
	v_fma_f32 v1, 0xbf737871, v1, -v52
	v_fma_f32 v46, 0xbf167918, v87, -v58
	v_add_f32_e32 v52, v64, v45
	v_sub_f32_e32 v58, v64, v45
	v_add_nc_u32_e32 v45, 0xffffff9c, v88
	v_add_f32_e32 v61, v105, v54
	v_fmac_f32_e32 v63, 0x3e9e377a, v66
	v_fmac_f32_e32 v0, 0x3f4f1bbd, v102
	v_sub_f32_e32 v53, v59, v53
	v_cndmask_b32_e64 v70, v45, v88, s0
	v_sub_f32_e32 v59, v110, v65
	v_add_f32_e32 v65, v101, v57
	v_fmac_f32_e32 v67, 0x3e9e377a, v66
	ds_write2_b32 v55, v60, v61 offset0:20 offset1:30
	v_add_f32_e32 v60, v63, v0
	v_sub_f32_e32 v61, v63, v0
	v_add_f32_e32 v63, v103, v1
	v_sub_f32_e32 v64, v103, v1
	v_mul_i32_i24_e32 v0, 5, v70
	v_mov_b32_e32 v1, 0
	v_mul_f32_e32 v47, 0xbf737871, v107
	ds_write2_b32 v55, v65, v53 offset0:40 offset1:50
	v_add_f32_e32 v53, v67, v46
	v_sub_f32_e32 v65, v67, v46
	v_lshlrev_b64 v[45:46], 3, v[0:1]
	v_mul_lo_u16 v0, v100, 41
	v_fmac_f32_e32 v47, 0x3e9e377a, v108
	v_sub_f32_e32 v54, v105, v54
	v_sub_f32_e32 v57, v101, v57
	ds_write2_b32 v55, v59, v56 offset0:60 offset1:70
	ds_write2_b32 v55, v54, v57 offset0:80 offset1:90
	v_lshrrev_b16 v67, 12, v0
	v_add_f32_e32 v62, v68, v47
	v_sub_f32_e32 v47, v68, v47
	ds_write2_b32 v69, v52, v60 offset1:10
	ds_write2_b32 v69, v62, v63 offset0:20 offset1:30
	ds_write2_b32 v69, v53, v58 offset0:40 offset1:50
	;; [unrolled: 1-line block ×3, first 2 shown]
	v_mul_lo_u16 v0, 0x64, v67
	v_add_co_u32 v61, s0, s12, v45
	v_add_co_ci_u32_e64 v62, s0, s13, v46, s0
	v_lshrrev_b16 v45, 2, v92
	v_mov_b32_e32 v46, 0x147b
	v_sub_nc_u16 v81, v90, v0
	v_mov_b32_e32 v0, 5
	ds_write2_b32 v69, v64, v65 offset0:80 offset1:90
	s_waitcnt lgkmcnt(0)
	s_barrier
	buffer_gl0_inv
	global_load_dwordx4 v[52:55], v[61:62], off offset:720
	v_mul_u32_u24_sdwa v45, v45, v46 dst_sel:DWORD dst_unused:UNUSED_PAD src0_sel:WORD_0 src1_sel:DWORD
	v_mul_u32_u24_sdwa v47, v81, v0 dst_sel:DWORD dst_unused:UNUSED_PAD src0_sel:BYTE_0 src1_sel:DWORD
	v_lshrrev_b16 v64, 2, v91
	v_cmp_lt_u32_e64 s0, 0x63, v88
	v_lshrrev_b32_e32 v63, 17, v45
	v_lshlrev_b32_e32 v45, 3, v47
	v_lshrrev_b16 v47, 2, v89
	v_mul_lo_u16 v56, 0x64, v63
	global_load_dwordx4 v[57:60], v45, s[12:13] offset:720
	v_mul_u32_u24_sdwa v47, v47, v46 dst_sel:DWORD dst_unused:UNUSED_PAD src0_sel:WORD_0 src1_sel:DWORD
	v_mul_u32_u24_sdwa v46, v64, v46 dst_sel:DWORD dst_unused:UNUSED_PAD src0_sel:WORD_0 src1_sel:DWORD
	v_sub_nc_u16 v77, v92, v56
	v_lshrrev_b32_e32 v56, 17, v47
	v_lshrrev_b32_e32 v46, 17, v46
	v_mul_u32_u24_sdwa v47, v77, v0 dst_sel:DWORD dst_unused:UNUSED_PAD src0_sel:WORD_0 src1_sel:DWORD
	v_mul_lo_u16 v65, 0x64, v56
	v_mul_lo_u16 v64, 0x64, v46
	v_lshlrev_b32_e32 v66, 3, v47
	v_sub_nc_u16 v68, v89, v65
	global_load_dwordx4 v[82:85], v66, s[12:13] offset:720
	v_mul_u32_u24_sdwa v47, v68, v0 dst_sel:DWORD dst_unused:UNUSED_PAD src0_sel:WORD_0 src1_sel:DWORD
	v_lshlrev_b32_e32 v65, 3, v47
	v_sub_nc_u16 v47, v91, v64
	global_load_dwordx4 v[100:103], v65, s[12:13] offset:720
	v_mul_u32_u24_sdwa v0, v47, v0 dst_sel:DWORD dst_unused:UNUSED_PAD src0_sel:WORD_0 src1_sel:DWORD
	v_lshlrev_b32_e32 v0, 3, v0
	s_clause 0xa
	global_load_dwordx4 v[104:107], v0, s[12:13] offset:720
	global_load_dwordx4 v[108:111], v[61:62], off offset:736
	global_load_dwordx4 v[112:115], v45, s[12:13] offset:736
	global_load_dwordx4 v[116:119], v66, s[12:13] offset:736
	;; [unrolled: 1-line block ×4, first 2 shown]
	global_load_dwordx2 v[128:129], v[61:62], off offset:752
	global_load_dwordx2 v[130:131], v45, s[12:13] offset:752
	global_load_dwordx2 v[132:133], v66, s[12:13] offset:752
	;; [unrolled: 1-line block ×4, first 2 shown]
	ds_read2_b32 v[61:62], v26 offset0:88 offset1:208
	ds_read2_b32 v[73:74], v29 offset0:56 offset1:176
	;; [unrolled: 1-line block ×3, first 2 shown]
	s_waitcnt vmcnt(14) lgkmcnt(2)
	v_mul_f32_e32 v0, v61, v53
	v_mul_f32_e32 v75, v20, v53
	;; [unrolled: 1-line block ×3, first 2 shown]
	s_waitcnt lgkmcnt(1)
	v_mul_f32_e32 v45, v74, v55
	v_fma_f32 v71, v20, v52, -v0
	v_fmac_f32_e32 v75, v61, v52
	ds_read2_b32 v[52:53], v27 offset0:40 offset1:160
	v_fmac_f32_e32 v86, v74, v54
	v_fma_f32 v17, v17, v54, -v45
	s_waitcnt vmcnt(13)
	v_mul_f32_e32 v0, v62, v58
	v_mul_f32_e32 v65, v21, v58
	;; [unrolled: 1-line block ×3, first 2 shown]
	v_fma_f32 v61, v21, v57, -v0
	ds_read2_b32 v[20:21], v32 offset0:72 offset1:192
	v_fmac_f32_e32 v65, v62, v57
	s_waitcnt lgkmcnt(1)
	v_mul_f32_e32 v0, v52, v60
	v_fmac_f32_e32 v74, v52, v59
	s_waitcnt vmcnt(12)
	v_mul_f32_e32 v64, v25, v85
	v_fma_f32 v72, v24, v59, -v0
	v_mul_f32_e32 v0, v53, v85
	v_mul_f32_e32 v60, v22, v83
	v_fmac_f32_e32 v64, v53, v84
	v_fma_f32 v62, v25, v84, -v0
	s_waitcnt lgkmcnt(0)
	v_mul_f32_e32 v0, v20, v83
	v_fmac_f32_e32 v60, v20, v82
	ds_read2_b32 v[24:25], v97 offset0:8 offset1:128
	s_waitcnt vmcnt(11)
	v_mul_f32_e32 v53, v23, v101
	v_fma_f32 v59, v22, v82, -v0
	v_mul_f32_e32 v0, v21, v101
	v_mul_f32_e32 v20, v78, v103
	;; [unrolled: 1-line block ×3, first 2 shown]
	v_fmac_f32_e32 v53, v21, v100
	s_waitcnt vmcnt(10)
	v_mul_f32_e32 v45, v16, v105
	v_fma_f32 v52, v23, v100, -v0
	ds_read2_b32 v[22:23], v31 offset0:104 offset1:224
	v_fma_f32 v57, v18, v102, -v20
	ds_read2_b32 v[20:21], v28 offset0:88 offset1:208
	v_mul_f32_e32 v0, v73, v105
	v_fmac_f32_e32 v58, v78, v102
	v_mul_f32_e32 v18, v79, v107
	s_waitcnt vmcnt(9)
	v_mul_f32_e32 v102, v8, v109
	ds_read2_b32 v[100:101], v33 offset0:120 offset1:240
	v_fma_f32 v0, v16, v104, -v0
	v_mul_f32_e32 v16, v5, v111
	v_fma_f32 v54, v19, v106, -v18
	v_mul_f32_e32 v55, v19, v107
	s_waitcnt lgkmcnt(3)
	v_mul_f32_e32 v18, v24, v109
	v_fmac_f32_e32 v102, v24, v108
	s_waitcnt vmcnt(8)
	v_mul_f32_e32 v83, v14, v115
	v_fmac_f32_e32 v45, v73, v104
	v_fmac_f32_e32 v55, v79, v106
	v_fma_f32 v103, v8, v108, -v18
	v_mul_f32_e32 v8, v25, v113
	s_waitcnt vmcnt(7)
	v_mul_f32_e32 v79, v15, v119
	s_waitcnt lgkmcnt(2)
	v_mul_f32_e32 v19, v23, v111
	v_fmac_f32_e32 v16, v23, v110
	ds_read2_b32 v[23:24], v36 offset0:72 offset1:192
	s_waitcnt lgkmcnt(2)
	v_mul_f32_e32 v18, v20, v115
	v_fmac_f32_e32 v83, v20, v114
	v_fma_f32 v5, v5, v110, -v19
	v_mul_f32_e32 v19, v21, v119
	v_mul_f32_e32 v104, v9, v113
	v_fma_f32 v84, v14, v114, -v18
	s_waitcnt vmcnt(6)
	v_mul_f32_e32 v14, v13, v121
	v_fma_f32 v105, v9, v112, -v8
	v_fma_f32 v78, v15, v118, -v19
	v_mul_f32_e32 v15, v12, v117
	ds_read2_b32 v[19:20], v30 offset0:56 offset1:176
	s_waitcnt lgkmcnt(2)
	v_mul_f32_e32 v8, v100, v117
	v_mul_f32_e32 v9, v101, v121
	v_fmac_f32_e32 v14, v101, v120
	v_fmac_f32_e32 v15, v100, v116
	ds_read2_b32 v[100:101], v35 offset0:40 offset1:160
	v_fmac_f32_e32 v79, v21, v118
	v_fma_f32 v18, v12, v116, -v8
	v_fma_f32 v12, v13, v120, -v9
	s_waitcnt vmcnt(5) lgkmcnt(2)
	v_mul_f32_e32 v21, v24, v127
	v_mul_f32_e32 v9, v23, v123
	;; [unrolled: 1-line block ×5, first 2 shown]
	v_fma_f32 v69, v11, v126, -v21
	ds_read_b32 v11, v95 offset:13920
	v_fma_f32 v76, v10, v122, -v9
	v_fma_f32 v9, v4, v124, -v13
	s_waitcnt vmcnt(4)
	v_mul_f32_e32 v4, v6, v129
	v_mul_f32_e32 v73, v10, v123
	s_waitcnt vmcnt(3) lgkmcnt(2)
	v_mul_f32_e32 v13, v20, v131
	v_mul_f32_e32 v10, v19, v129
	;; [unrolled: 1-line block ×3, first 2 shown]
	v_fmac_f32_e32 v4, v19, v128
	s_waitcnt vmcnt(1)
	v_mul_f32_e32 v80, v3, v135
	v_fma_f32 v7, v7, v130, -v13
	s_waitcnt lgkmcnt(1)
	v_mul_f32_e32 v13, v101, v135
	v_fma_f32 v6, v6, v128, -v10
	v_mul_f32_e32 v10, v100, v133
	s_waitcnt vmcnt(0)
	v_mul_f32_e32 v109, v44, v137
	v_mul_f32_e32 v85, v2, v133
	v_fma_f32 v3, v3, v134, -v13
	v_add_f32_e32 v13, v102, v4
	v_fma_f32 v2, v2, v132, -v10
	v_add_f32_e32 v19, v75, v102
	s_waitcnt lgkmcnt(0)
	v_mul_f32_e32 v10, v11, v137
	v_fmac_f32_e32 v109, v11, v136
	v_add_f32_e32 v11, v103, v6
	v_fmac_f32_e32 v75, -0.5, v13
	v_sub_f32_e32 v13, v103, v6
	v_fmac_f32_e32 v8, v22, v124
	v_fmac_f32_e32 v87, v20, v130
	v_add_f32_e32 v20, v17, v5
	v_add_f32_e32 v21, v71, v103
	v_fmac_f32_e32 v71, -0.5, v11
	v_sub_f32_e32 v11, v102, v4
	v_fmamk_f32 v22, v13, 0xbf5db3d7, v75
	v_fmac_f32_e32 v73, v23, v122
	v_fmac_f32_e32 v66, v24, v126
	v_fma_f32 v10, v44, v136, -v10
	v_add_f32_e32 v23, v43, v17
	v_lshlrev_b32_e32 v24, 2, v70
	v_fmamk_f32 v44, v11, 0x3f5db3d7, v71
	v_mul_f32_e32 v70, 0x3f5db3d7, v22
	v_fmac_f32_e32 v43, -0.5, v20
	v_sub_f32_e32 v20, v86, v16
	v_fmac_f32_e32 v104, v25, v112
	v_cndmask_b32_e64 v25, 0, 0x960, s0
	v_add_f32_e32 v6, v21, v6
	v_fmac_f32_e32 v71, 0xbf5db3d7, v11
	v_add_f32_e32 v11, v23, v5
	v_fmac_f32_e32 v70, 0.5, v44
	v_fmamk_f32 v21, v20, 0x3f5db3d7, v43
	v_fmac_f32_e32 v80, v101, v134
	v_add3_u32 v101, 0, v25, v24
	v_fmac_f32_e32 v75, 0x3f5db3d7, v13
	v_mul_f32_e32 v13, -0.5, v71
	v_add_f32_e32 v23, v11, v6
	v_add_f32_e32 v24, v21, v70
	v_fmac_f32_e32 v43, 0xbf5db3d7, v20
	v_sub_f32_e32 v20, v21, v70
	v_add_f32_e32 v21, v104, v87
	v_fmac_f32_e32 v85, v100, v132
	ds_read_b32 v82, v99
	ds_read_b32 v106, v98
	;; [unrolled: 1-line block ×5, first 2 shown]
	s_waitcnt lgkmcnt(0)
	v_fmac_f32_e32 v13, 0x3f5db3d7, v75
	s_barrier
	buffer_gl0_inv
	ds_write2_b32 v101, v23, v24 offset1:100
	v_add_f32_e32 v24, v105, v7
	v_add_f32_e32 v103, v65, v104
	v_fmac_f32_e32 v65, -0.5, v21
	v_sub_f32_e32 v21, v105, v7
	v_sub_f32_e32 v6, v11, v6
	v_add_f32_e32 v11, v43, v13
	v_sub_f32_e32 v13, v43, v13
	v_add_f32_e32 v23, v72, v84
	v_add_f32_e32 v43, v61, v105
	v_mov_b32_e32 v105, 0x960
	v_fmac_f32_e32 v61, -0.5, v24
	v_sub_f32_e32 v24, v104, v87
	v_fmamk_f32 v104, v21, 0xbf5db3d7, v65
	v_add_f32_e32 v25, v42, v72
	v_fmac_f32_e32 v42, -0.5, v23
	v_mul_u32_u24_sdwa v23, v67, v105 dst_sel:DWORD dst_unused:UNUSED_PAD src0_sel:WORD_0 src1_sel:DWORD
	v_lshlrev_b32_sdwa v67, v38, v81 dst_sel:DWORD dst_unused:UNUSED_PAD src0_sel:DWORD src1_sel:BYTE_0
	v_fmamk_f32 v81, v24, 0x3f5db3d7, v61
	v_fmac_f32_e32 v61, 0xbf5db3d7, v24
	v_mul_f32_e32 v105, 0x3f5db3d7, v104
	v_sub_f32_e32 v110, v74, v83
	v_fmac_f32_e32 v65, 0x3f5db3d7, v21
	v_add_f32_e32 v7, v43, v7
	v_mul_f32_e32 v21, -0.5, v61
	v_add_f32_e32 v24, v25, v84
	v_fmac_f32_e32 v105, 0.5, v81
	v_fmamk_f32 v25, v110, 0x3f5db3d7, v42
	v_add_nc_u32_e32 v70, 0x200, v101
	v_add3_u32 v67, 0, v23, v67
	v_fmac_f32_e32 v42, 0xbf5db3d7, v110
	v_fmac_f32_e32 v21, 0x3f5db3d7, v65
	v_add_nc_u32_e32 v102, 0x400, v101
	v_add_f32_e32 v23, v24, v7
	v_add_f32_e32 v43, v25, v105
	ds_write2_b32 v70, v11, v6 offset0:72 offset1:172
	ds_write2_b32 v102, v20, v13 offset0:144 offset1:244
	ds_write2_b32 v67, v23, v43 offset1:100
	v_sub_f32_e32 v6, v24, v7
	v_add_f32_e32 v7, v42, v21
	v_add_nc_u32_e32 v110, 0x200, v67
	v_add_f32_e32 v20, v62, v78
	v_add_f32_e32 v111, v60, v15
	v_sub_f32_e32 v13, v42, v21
	v_lshlrev_b32_sdwa v21, v38, v77 dst_sel:DWORD dst_unused:UNUSED_PAD src0_sel:DWORD src1_sel:WORD_0
	ds_write2_b32 v110, v7, v6 offset0:72 offset1:172
	v_add_f32_e32 v6, v15, v85
	v_add_f32_e32 v7, v41, v62
	v_fmac_f32_e32 v41, -0.5, v20
	v_add_f32_e32 v20, v18, v2
	v_sub_f32_e32 v15, v15, v85
	v_fmac_f32_e32 v60, -0.5, v6
	v_sub_f32_e32 v6, v18, v2
	v_add_f32_e32 v18, v59, v18
	v_fmac_f32_e32 v59, -0.5, v20
	v_mul_u32_u24_e32 v20, 0x960, v63
	v_add_f32_e32 v7, v7, v78
	v_fmamk_f32 v63, v6, 0xbf5db3d7, v60
	v_add_f32_e32 v2, v18, v2
	v_fmamk_f32 v77, v15, 0x3f5db3d7, v59
	v_fmac_f32_e32 v59, 0xbf5db3d7, v15
	v_sub_f32_e32 v18, v64, v79
	v_fmac_f32_e32 v60, 0x3f5db3d7, v6
	v_mul_f32_e32 v15, 0x3f5db3d7, v63
	v_add3_u32 v112, 0, v20, v21
	v_mul_f32_e32 v6, -0.5, v59
	v_fmamk_f32 v23, v18, 0x3f5db3d7, v41
	v_fmac_f32_e32 v41, 0xbf5db3d7, v18
	v_sub_f32_e32 v11, v25, v105
	v_add_nc_u32_e32 v105, 0x400, v67
	v_fmac_f32_e32 v6, 0x3f5db3d7, v60
	v_fmac_f32_e32 v15, 0.5, v77
	v_add_f32_e32 v18, v7, v2
	v_sub_f32_e32 v2, v7, v2
	v_add_nc_u32_e32 v113, 0x200, v112
	v_add_f32_e32 v7, v41, v6
	v_add_f32_e32 v20, v23, v15
	ds_write2_b32 v105, v11, v13 offset0:144 offset1:244
	v_sub_f32_e32 v11, v23, v15
	v_add_f32_e32 v15, v12, v3
	ds_write2_b32 v113, v7, v2 offset0:72 offset1:172
	v_add_f32_e32 v2, v14, v80
	v_add_f32_e32 v7, v57, v76
	;; [unrolled: 1-line block ×3, first 2 shown]
	v_sub_f32_e32 v14, v14, v80
	v_add_f32_e32 v13, v40, v57
	v_fmac_f32_e32 v53, -0.5, v2
	v_add_f32_e32 v2, v52, v12
	v_sub_f32_e32 v12, v12, v3
	v_fmac_f32_e32 v52, -0.5, v15
	v_fmac_f32_e32 v40, -0.5, v7
	v_mul_u32_u24_e32 v7, 0x960, v56
	v_lshlrev_b32_sdwa v15, v38, v68 dst_sel:DWORD dst_unused:UNUSED_PAD src0_sel:DWORD src1_sel:WORD_0
	v_fmamk_f32 v56, v12, 0xbf5db3d7, v53
	v_fmamk_f32 v68, v14, 0x3f5db3d7, v52
	v_fmac_f32_e32 v52, 0xbf5db3d7, v14
	v_add_f32_e32 v2, v2, v3
	v_sub_f32_e32 v14, v58, v73
	v_mul_f32_e32 v3, 0x3f5db3d7, v56
	v_fmac_f32_e32 v53, 0x3f5db3d7, v12
	v_mul_f32_e32 v12, -0.5, v52
	ds_write2_b32 v112, v18, v20 offset1:100
	v_add_f32_e32 v13, v13, v76
	v_fmac_f32_e32 v3, 0.5, v68
	v_fmamk_f32 v18, v14, 0x3f5db3d7, v40
	v_fmac_f32_e32 v40, 0xbf5db3d7, v14
	v_fmac_f32_e32 v12, 0x3f5db3d7, v53
	v_add3_u32 v116, 0, v7, v15
	v_sub_f32_e32 v6, v41, v6
	v_add_nc_u32_e32 v114, 0x400, v112
	v_add_f32_e32 v7, v13, v2
	v_add_f32_e32 v14, v18, v3
	v_sub_f32_e32 v2, v13, v2
	v_add_f32_e32 v13, v40, v12
	v_sub_f32_e32 v3, v18, v3
	v_sub_f32_e32 v12, v40, v12
	v_add_nc_u32_e32 v118, 0x400, v116
	v_add_nc_u32_e32 v117, 0x200, v116
	ds_write2_b32 v114, v11, v6 offset0:144 offset1:244
	ds_write2_b32 v116, v7, v14 offset1:100
	ds_write2_b32 v117, v13, v2 offset0:72 offset1:172
	v_add_f32_e32 v2, v9, v10
	ds_write2_b32 v118, v3, v12 offset0:144 offset1:244
	v_add_f32_e32 v3, v8, v109
	v_add_f32_e32 v7, v0, v9
	;; [unrolled: 1-line block ×3, first 2 shown]
	v_fmac_f32_e32 v0, -0.5, v2
	v_sub_f32_e32 v2, v9, v10
	v_fmac_f32_e32 v45, -0.5, v3
	v_add_f32_e32 v6, v54, v69
	v_sub_f32_e32 v8, v8, v109
	v_mul_u32_u24_e32 v11, 0x960, v46
	v_add_f32_e32 v3, v39, v54
	v_fmamk_f32 v46, v2, 0xbf5db3d7, v45
	v_lshlrev_b32_sdwa v9, v38, v47 dst_sel:DWORD dst_unused:UNUSED_PAD src0_sel:DWORD src1_sel:WORD_0
	v_fmac_f32_e32 v39, -0.5, v6
	v_fmamk_f32 v47, v8, 0x3f5db3d7, v0
	v_fmac_f32_e32 v0, 0xbf5db3d7, v8
	v_add_f32_e32 v6, v7, v10
	v_mul_f32_e32 v7, 0x3f5db3d7, v46
	v_sub_f32_e32 v8, v55, v66
	v_add_f32_e32 v3, v3, v69
	v_fmac_f32_e32 v45, 0x3f5db3d7, v2
	v_mul_f32_e32 v2, -0.5, v0
	v_fmac_f32_e32 v7, 0.5, v47
	v_fmamk_f32 v10, v8, 0x3f5db3d7, v39
	v_fmac_f32_e32 v39, 0xbf5db3d7, v8
	v_add3_u32 v120, 0, v11, v9
	v_add_f32_e32 v8, v3, v6
	v_fmac_f32_e32 v2, 0x3f5db3d7, v45
	v_add_f32_e32 v9, v10, v7
	v_sub_f32_e32 v3, v3, v6
	v_add_nc_u32_e32 v121, 0x200, v120
	v_mul_f32_e32 v44, 0xbf5db3d7, v44
	v_add_f32_e32 v6, v39, v2
	ds_write2_b32 v120, v8, v9 offset1:100
	v_add_f32_e32 v9, v86, v16
	v_add_f32_e32 v8, v108, v86
	v_sub_f32_e32 v123, v17, v5
	v_sub_f32_e32 v7, v10, v7
	v_sub_f32_e32 v2, v39, v2
	v_fmac_f32_e32 v108, -0.5, v9
	v_add_nc_u32_e32 v122, 0x400, v120
	v_mul_f32_e32 v75, -0.5, v75
	ds_write2_b32 v121, v6, v3 offset0:72 offset1:172
	ds_write2_b32 v122, v7, v2 offset0:144 offset1:244
	v_add_f32_e32 v86, v8, v16
	v_add_f32_e32 v124, v19, v4
	v_fmac_f32_e32 v44, 0.5, v22
	s_waitcnt lgkmcnt(0)
	s_barrier
	buffer_gl0_inv
	ds_read_b32 v42, v95
	ds_read_b32 v39, v99
	;; [unrolled: 1-line block ×5, first 2 shown]
	ds_read_b32 v43, v95 offset:13920
	ds_read2_b32 v[4:5], v26 offset0:88 offset1:208
	ds_read2_b32 v[24:25], v29 offset0:56 offset1:176
	;; [unrolled: 1-line block ×12, first 2 shown]
	v_fmamk_f32 v98, v123, 0xbf5db3d7, v108
	v_fmac_f32_e32 v108, 0x3f5db3d7, v123
	v_fmac_f32_e32 v75, 0xbf5db3d7, v71
	v_add_f32_e32 v125, v74, v83
	v_add_f32_e32 v99, v86, v124
	;; [unrolled: 1-line block ×4, first 2 shown]
	v_mul_f32_e32 v74, 0xbf5db3d7, v81
	v_sub_f32_e32 v81, v86, v124
	v_add_f32_e32 v86, v108, v75
	v_sub_f32_e32 v44, v98, v44
	v_sub_f32_e32 v75, v108, v75
	v_fmac_f32_e32 v106, -0.5, v125
	v_sub_f32_e32 v72, v72, v84
	s_waitcnt lgkmcnt(0)
	s_barrier
	buffer_gl0_inv
	ds_write2_b32 v101, v99, v126 offset1:100
	ds_write2_b32 v70, v86, v81 offset0:72 offset1:172
	ds_write2_b32 v102, v44, v75 offset0:144 offset1:244
	v_mul_f32_e32 v44, -0.5, v65
	v_add_f32_e32 v65, v82, v64
	v_add_f32_e32 v64, v64, v79
	;; [unrolled: 1-line block ×4, first 2 shown]
	v_fmac_f32_e32 v74, 0.5, v104
	v_fmamk_f32 v84, v72, 0xbf5db3d7, v106
	v_fmac_f32_e32 v82, -0.5, v64
	v_mul_f32_e32 v64, 0xbf5db3d7, v77
	v_sub_f32_e32 v62, v62, v78
	v_mul_f32_e32 v60, -0.5, v60
	v_add_f32_e32 v87, v71, v83
	v_add_f32_e32 v98, v84, v74
	v_fmac_f32_e32 v106, 0x3f5db3d7, v72
	v_fmac_f32_e32 v44, 0xbf5db3d7, v61
	v_sub_f32_e32 v61, v71, v83
	v_add_f32_e32 v65, v65, v79
	v_add_f32_e32 v71, v111, v85
	v_fmac_f32_e32 v64, 0.5, v63
	v_fmamk_f32 v63, v62, 0xbf5db3d7, v82
	v_fmac_f32_e32 v82, 0x3f5db3d7, v62
	v_fmac_f32_e32 v60, 0xbf5db3d7, v59
	ds_write2_b32 v67, v87, v98 offset1:100
	v_sub_f32_e32 v67, v84, v74
	v_add_f32_e32 v70, v106, v44
	v_sub_f32_e32 v44, v106, v44
	v_add_f32_e32 v59, v65, v71
	v_add_f32_e32 v62, v63, v64
	v_sub_f32_e32 v65, v65, v71
	v_add_f32_e32 v71, v82, v60
	ds_write2_b32 v110, v70, v61 offset0:72 offset1:172
	v_add_f32_e32 v61, v58, v73
	ds_write2_b32 v105, v67, v44 offset0:144 offset1:244
	ds_write2_b32 v112, v59, v62 offset1:100
	ds_write2_b32 v113, v71, v65 offset0:72 offset1:172
	v_sub_f32_e32 v59, v82, v60
	v_mul_f32_e32 v60, 0xbf5db3d7, v68
	v_add_f32_e32 v44, v107, v58
	v_fmac_f32_e32 v107, -0.5, v61
	v_sub_f32_e32 v57, v57, v76
	v_mul_f32_e32 v53, -0.5, v53
	v_fmac_f32_e32 v60, 0.5, v56
	v_add_f32_e32 v56, v55, v66
	v_add_f32_e32 v44, v44, v73
	v_fmamk_f32 v61, v57, 0xbf5db3d7, v107
	v_add_f32_e32 v62, v115, v80
	v_add_f32_e32 v55, v100, v55
	v_fmac_f32_e32 v100, -0.5, v56
	v_sub_f32_e32 v54, v54, v69
	v_mul_f32_e32 v47, 0xbf5db3d7, v47
	v_mul_f32_e32 v45, -0.5, v45
	v_fmac_f32_e32 v107, 0x3f5db3d7, v57
	v_fmac_f32_e32 v53, 0xbf5db3d7, v52
	v_add_f32_e32 v52, v44, v62
	v_sub_f32_e32 v44, v44, v62
	v_add_f32_e32 v56, v61, v60
	v_sub_f32_e32 v57, v61, v60
	v_add_f32_e32 v55, v55, v66
	v_add_f32_e32 v61, v119, v109
	v_fmamk_f32 v62, v54, 0xbf5db3d7, v100
	v_fmac_f32_e32 v47, 0.5, v46
	v_sub_f32_e32 v58, v63, v64
	v_fmac_f32_e32 v100, 0x3f5db3d7, v54
	v_fmac_f32_e32 v45, 0xbf5db3d7, v0
	v_add_f32_e32 v60, v107, v53
	v_sub_f32_e32 v53, v107, v53
	v_add_f32_e32 v0, v55, v61
	v_add_f32_e32 v54, v62, v47
	v_sub_f32_e32 v46, v55, v61
	v_sub_f32_e32 v47, v62, v47
	v_add_f32_e32 v55, v100, v45
	v_sub_f32_e32 v45, v100, v45
	ds_write2_b32 v114, v58, v59 offset0:144 offset1:244
	ds_write2_b32 v116, v52, v56 offset1:100
	ds_write2_b32 v117, v60, v44 offset0:72 offset1:172
	ds_write2_b32 v118, v57, v53 offset0:144 offset1:244
	ds_write2_b32 v120, v0, v54 offset1:100
	ds_write2_b32 v121, v55, v46 offset0:72 offset1:172
	ds_write2_b32 v122, v47, v45 offset0:144 offset1:244
	s_waitcnt lgkmcnt(0)
	s_barrier
	buffer_gl0_inv
	s_and_saveexec_b32 s0, vcc_lo
	s_cbranch_execz .LBB0_15
; %bb.14:
	v_mul_u32_u24_e32 v44, 5, v88
	v_mul_i32_i24_e32 v0, 5, v91
	v_mul_i32_i24_e32 v118, 0xffffffdc, v90
	;; [unrolled: 1-line block ×3, first 2 shown]
	v_mul_lo_u32 v120, s5, v50
	v_lshlrev_b32_e32 v46, 3, v44
	v_lshlrev_b64 v[44:45], 3, v[0:1]
	v_mul_lo_u32 v121, s4, v51
	v_mad_u64_u32 v[50:51], null, s4, v50, 0
	v_add_co_u32 v0, s0, s12, v46
	v_add_co_ci_u32_e64 v46, null, s13, 0, s0
	v_add_co_u32 v64, vcc_lo, s12, v44
	v_add_co_ci_u32_e32 v65, vcc_lo, s13, v45, vcc_lo
	v_add_co_u32 v56, vcc_lo, 0x1270, v0
	v_add_co_ci_u32_e32 v57, vcc_lo, 0, v46, vcc_lo
	v_add_co_u32 v44, vcc_lo, 0x1000, v0
	v_mul_i32_i24_e32 v0, 5, v89
	v_add_co_ci_u32_e32 v45, vcc_lo, 0, v46, vcc_lo
	v_add_co_u32 v60, vcc_lo, 0x1270, v64
	v_lshlrev_b64 v[62:63], 3, v[0:1]
	v_add_co_ci_u32_e32 v61, vcc_lo, 0, v65, vcc_lo
	v_add_co_u32 v64, vcc_lo, 0x1000, v64
	v_add_co_ci_u32_e32 v65, vcc_lo, 0, v65, vcc_lo
	v_add_co_u32 v0, vcc_lo, s12, v62
	v_add_co_ci_u32_e32 v66, vcc_lo, s13, v63, vcc_lo
	s_clause 0x5
	global_load_dwordx4 v[44:47], v[44:45], off offset:624
	global_load_dwordx4 v[52:55], v[56:57], off offset:16
	global_load_dwordx2 v[98:99], v[56:57], off offset:32
	global_load_dwordx4 v[56:59], v[60:61], off offset:16
	global_load_dwordx2 v[100:101], v[60:61], off offset:32
	global_load_dwordx4 v[60:63], v[64:65], off offset:624
	v_add_co_u32 v64, vcc_lo, 0x1000, v0
	v_add_co_ci_u32_e32 v65, vcc_lo, 0, v66, vcc_lo
	v_add_co_u32 v72, vcc_lo, 0x1270, v0
	v_add_co_ci_u32_e32 v73, vcc_lo, 0, v66, vcc_lo
	v_mul_i32_i24_e32 v0, 5, v92
	s_clause 0x2
	global_load_dwordx4 v[64:67], v[64:65], off offset:624
	global_load_dwordx4 v[68:71], v[72:73], off offset:16
	global_load_dwordx2 v[102:103], v[72:73], off offset:32
	v_add3_u32 v51, v51, v121, v120
	v_lshlrev_b64 v[72:73], 3, v[0:1]
	v_lshlrev_b64 v[48:49], 3, v[48:49]
	;; [unrolled: 1-line block ×3, first 2 shown]
	v_add_co_u32 v0, vcc_lo, s12, v72
	v_add_co_ci_u32_e32 v74, vcc_lo, s13, v73, vcc_lo
	v_add_co_u32 v72, vcc_lo, 0x1000, v0
	v_add_co_ci_u32_e32 v73, vcc_lo, 0, v74, vcc_lo
	v_add_co_u32 v80, vcc_lo, 0x1270, v0
	v_mul_i32_i24_e32 v0, 5, v90
	v_add_co_ci_u32_e32 v81, vcc_lo, 0, v74, vcc_lo
	s_clause 0x2
	global_load_dwordx4 v[72:75], v[72:73], off offset:624
	global_load_dwordx4 v[76:79], v[80:81], off offset:16
	global_load_dwordx2 v[104:105], v[80:81], off offset:32
	v_lshlrev_b64 v[0:1], 3, v[0:1]
	v_add_co_u32 v80, vcc_lo, s12, v0
	v_add_co_ci_u32_e32 v81, vcc_lo, s13, v1, vcc_lo
	v_add_co_u32 v0, vcc_lo, 0x1000, v80
	v_add_co_ci_u32_e32 v1, vcc_lo, 0, v81, vcc_lo
	;; [unrolled: 2-line block ×3, first 2 shown]
	s_clause 0x2
	global_load_dwordx4 v[80:83], v[0:1], off offset:624
	global_load_dwordx4 v[84:87], v[106:107], off offset:16
	global_load_dwordx2 v[106:107], v[106:107], off offset:32
	ds_read2_b32 v[0:1], v37 offset0:24 offset1:144
	ds_read2_b32 v[89:90], v29 offset0:56 offset1:176
	;; [unrolled: 1-line block ×12, first 2 shown]
	v_add_nc_u32_e32 v26, v94, v119
	v_add_nc_u32_e32 v33, v93, v118
	ds_read_b32 v34, v34
	ds_read_b32 v35, v96
	ds_read_b32 v93, v95 offset:13920
	ds_read_b32 v94, v95
	ds_read_b32 v26, v26
	;; [unrolled: 1-line block ×3, first 2 shown]
	s_waitcnt vmcnt(14) lgkmcnt(16)
	v_mul_f32_e32 v33, v47, v90
	v_mul_f32_e32 v90, v46, v90
	s_waitcnt vmcnt(11) lgkmcnt(14)
	v_mul_f32_e32 v119, v59, v37
	v_mul_f32_e32 v37, v58, v37
	;; [unrolled: 1-line block ×4, first 2 shown]
	s_waitcnt lgkmcnt(13)
	v_mul_f32_e32 v97, v53, v108
	v_fma_f32 v58, v23, v58, -v119
	v_fmac_f32_e32 v37, v23, v59
	v_fma_f32 v23, v2, v56, -v120
	v_fmac_f32_e32 v91, v2, v57
	s_waitcnt vmcnt(10) lgkmcnt(3)
	v_mul_f32_e32 v2, v101, v93
	v_mul_f32_e32 v56, v100, v93
	;; [unrolled: 1-line block ×5, first 2 shown]
	s_waitcnt vmcnt(9)
	v_mul_f32_e32 v29, v63, v1
	v_fma_f32 v2, v43, v100, -v2
	v_fmac_f32_e32 v56, v43, v101
	v_mul_f32_e32 v1, v62, v1
	v_mul_f32_e32 v43, v61, v89
	;; [unrolled: 1-line block ×3, first 2 shown]
	v_fma_f32 v89, v25, v46, -v33
	v_fmac_f32_e32 v90, v25, v47
	v_fmac_f32_e32 v108, v6, v53
	v_fma_f32 v25, v21, v62, -v29
	v_fmac_f32_e32 v1, v21, v63
	v_fma_f32 v21, v24, v60, -v43
	v_fmac_f32_e32 v57, v24, v61
	s_waitcnt vmcnt(8)
	v_mul_f32_e32 v24, v67, v0
	s_waitcnt vmcnt(7)
	v_mul_f32_e32 v29, v71, v36
	v_mul_f32_e32 v0, v66, v0
	;; [unrolled: 1-line block ×5, first 2 shown]
	s_waitcnt vmcnt(6)
	v_mul_f32_e32 v46, v103, v113
	v_mul_f32_e32 v47, v68, v111
	;; [unrolled: 1-line block ×4, first 2 shown]
	v_sub_f32_e32 v59, v25, v58
	v_add_f32_e32 v60, v1, v37
	v_fma_f32 v29, v22, v70, -v29
	v_fmac_f32_e32 v33, v22, v71
	v_add_f32_e32 v22, v23, v2
	v_fma_f32 v43, v17, v68, -v43
	v_fmac_f32_e32 v47, v17, v69
	v_sub_f32_e32 v17, v23, v2
	v_add_f32_e32 v62, v91, v56
	v_add_f32_e32 v63, v1, v34
	;; [unrolled: 1-line block ×4, first 2 shown]
	v_sub_f32_e32 v70, v1, v37
	v_add_f32_e32 v1, v41, v25
	v_add_f32_e32 v23, v21, v23
	v_fma_f32 v24, v20, v66, -v24
	v_fmac_f32_e32 v0, v20, v67
	v_fma_f32 v20, v11, v64, -v36
	v_fma_f32 v25, v19, v102, -v46
	v_fmac_f32_e32 v53, v19, v103
	v_fmac_f32_e32 v32, v11, v65
	s_waitcnt vmcnt(5)
	v_mul_f32_e32 v11, v75, v115
	s_waitcnt vmcnt(4)
	v_mul_f32_e32 v19, v79, v28
	v_mul_f32_e32 v36, v74, v115
	;; [unrolled: 1-line block ×5, first 2 shown]
	s_waitcnt vmcnt(3)
	v_mul_f32_e32 v65, v105, v112
	v_mul_f32_e32 v66, v76, v110
	;; [unrolled: 1-line block ×4, first 2 shown]
	v_sub_f32_e32 v61, v91, v56
	v_fma_f32 v34, -0.5, v60, v34
	v_fma_f32 v22, -0.5, v22, v21
	;; [unrolled: 1-line block ×3, first 2 shown]
	v_add_f32_e32 v21, v37, v63
	v_add_f32_e32 v37, v68, v56
	;; [unrolled: 1-line block ×6, first 2 shown]
	v_sub_f32_e32 v62, v47, v53
	v_add_f32_e32 v68, v47, v53
	v_add_f32_e32 v47, v32, v47
	v_fma_f32 v74, v13, v74, -v11
	v_fma_f32 v19, v15, v78, -v19
	v_fmac_f32_e32 v36, v13, v75
	v_fmac_f32_e32 v46, v15, v79
	v_fma_f32 v15, v16, v76, -v64
	v_fma_f32 v64, v18, v104, -v65
	v_fmac_f32_e32 v66, v16, v77
	v_fmac_f32_e32 v67, v18, v105
	;; [unrolled: 1-line block ×3, first 2 shown]
	s_waitcnt vmcnt(0)
	v_mul_f32_e32 v73, v107, v30
	v_mul_f32_e32 v75, v84, v109
	;; [unrolled: 1-line block ×3, first 2 shown]
	v_fma_f32 v41, -0.5, v69, v41
	v_sub_f32_e32 v23, v24, v29
	v_sub_f32_e32 v63, v43, v25
	v_add_f32_e32 v69, v0, v35
	v_add_f32_e32 v71, v24, v29
	v_sub_f32_e32 v91, v0, v33
	v_add_f32_e32 v24, v40, v24
	v_add_f32_e32 v43, v20, v43
	v_fma_f32 v13, v10, v72, -v28
	v_mul_f32_e32 v18, v87, v27
	v_mul_f32_e32 v27, v86, v27
	;; [unrolled: 1-line block ×4, first 2 shown]
	v_fmamk_f32 v78, v61, 0xbf5db3d7, v22
	v_fmac_f32_e32 v22, 0x3f5db3d7, v61
	v_sub_f32_e32 v1, v21, v37
	v_sub_f32_e32 v0, v56, v2
	v_add_f32_e32 v11, v21, v37
	v_add_f32_e32 v10, v56, v2
	v_fma_f32 v2, -0.5, v58, v35
	v_fma_f32 v35, -0.5, v60, v20
	;; [unrolled: 1-line block ×3, first 2 shown]
	v_add_f32_e32 v32, v47, v53
	v_add_f32_e32 v47, v15, v64
	v_sub_f32_e32 v53, v66, v67
	v_add_f32_e32 v58, v66, v67
	s_waitcnt lgkmcnt(1)
	v_add_f32_e32 v60, v36, v26
	v_add_f32_e32 v61, v31, v66
	;; [unrolled: 1-line block ×3, first 2 shown]
	v_fmac_f32_e32 v75, v7, v85
	v_fmac_f32_e32 v30, v9, v107
	v_mul_f32_e32 v16, v83, v114
	v_mul_f32_e32 v65, v82, v114
	;; [unrolled: 1-line block ×3, first 2 shown]
	v_fmamk_f32 v79, v17, 0x3f5db3d7, v57
	v_fmac_f32_e32 v57, 0xbf5db3d7, v17
	v_add_f32_e32 v17, v33, v69
	v_add_f32_e32 v24, v24, v29
	v_add_f32_e32 v25, v43, v25
	v_sub_f32_e32 v56, v15, v64
	v_add_f32_e32 v68, v39, v74
	v_add_f32_e32 v15, v13, v15
	v_fma_f32 v18, v14, v86, -v18
	v_fmac_f32_e32 v27, v14, v87
	v_fma_f32 v14, v7, v84, -v72
	v_fma_f32 v69, v9, v106, -v73
	v_fmac_f32_e32 v76, v5, v81
	v_fmamk_f32 v72, v62, 0xbf5db3d7, v35
	v_fmamk_f32 v73, v63, 0x3f5db3d7, v37
	v_fmac_f32_e32 v37, 0xbf5db3d7, v63
	v_fmac_f32_e32 v35, 0x3f5db3d7, v62
	v_fma_f32 v63, -0.5, v47, v13
	v_add_f32_e32 v13, v46, v60
	v_fma_f32 v60, -0.5, v66, v39
	v_add_f32_e32 v39, v75, v30
	v_sub_f32_e32 v33, v74, v19
	v_add_f32_e32 v43, v36, v46
	v_fma_f32 v16, v12, v82, -v16
	v_fmac_f32_e32 v65, v12, v83
	v_fma_f32 v12, v5, v80, -v28
	v_mul_f32_e32 v5, -0.5, v79
	v_mul_f32_e32 v9, -0.5, v78
	v_sub_f32_e32 v21, v17, v32
	v_sub_f32_e32 v20, v24, v25
	v_add_f32_e32 v29, v17, v32
	v_add_f32_e32 v28, v24, v25
	v_fma_f32 v58, -0.5, v58, v31
	v_add_f32_e32 v17, v61, v67
	v_add_f32_e32 v19, v68, v19
	v_add_f32_e32 v15, v15, v64
	v_add_f32_e32 v25, v14, v69
	v_sub_f32_e32 v31, v14, v69
	v_add_f32_e32 v64, v76, v75
	v_mul_f32_e32 v67, -0.5, v73
	v_mul_f32_e32 v68, 0xbf5db3d7, v35
	v_fma_f32 v76, -0.5, v39, v76
	v_fmamk_f32 v77, v59, 0x3f5db3d7, v34
	v_fmac_f32_e32 v34, 0xbf5db3d7, v59
	v_fmamk_f32 v59, v70, 0xbf5db3d7, v41
	v_fmac_f32_e32 v41, 0x3f5db3d7, v70
	v_fma_f32 v40, -0.5, v71, v40
	v_mul_f32_e32 v70, 0x3f5db3d7, v57
	v_fmamk_f32 v71, v23, 0x3f5db3d7, v2
	v_fmac_f32_e32 v2, 0xbf5db3d7, v23
	v_fma_f32 v43, -0.5, v43, v26
	v_sub_f32_e32 v23, v16, v18
	v_add_f32_e32 v24, v65, v27
	v_sub_f32_e32 v26, v75, v30
	s_waitcnt lgkmcnt(0)
	v_add_f32_e32 v61, v65, v95
	v_add_f32_e32 v66, v16, v18
	v_add_f32_e32 v16, v38, v16
	v_fmac_f32_e32 v5, 0xbf5db3d7, v78
	v_fmac_f32_e32 v9, 0x3f5db3d7, v79
	v_mul_f32_e32 v74, -0.5, v72
	v_fmamk_f32 v80, v56, 0x3f5db3d7, v58
	v_fmac_f32_e32 v58, 0xbf5db3d7, v56
	v_fma_f32 v82, -0.5, v25, v12
	v_fmac_f32_e32 v67, 0xbf5db3d7, v72
	v_fmac_f32_e32 v68, 0.5, v37
	v_fmamk_f32 v72, v31, 0x3f5db3d7, v76
	v_sub_f32_e32 v36, v36, v46
	v_mul_f32_e32 v7, 0xbf5db3d7, v22
	v_add_f32_e32 v14, v12, v14
	v_fmac_f32_e32 v70, 0.5, v22
	v_mul_f32_e32 v75, 0x3f5db3d7, v37
	v_fmamk_f32 v78, v33, 0x3f5db3d7, v43
	v_fmamk_f32 v79, v53, 0xbf5db3d7, v63
	v_fmac_f32_e32 v43, 0xbf5db3d7, v33
	v_fmac_f32_e32 v63, 0x3f5db3d7, v53
	v_sub_f32_e32 v33, v13, v17
	v_add_f32_e32 v47, v13, v17
	v_fma_f32 v81, -0.5, v24, v95
	v_add_f32_e32 v83, v27, v61
	v_add_f32_e32 v84, v16, v18
	v_sub_f32_e32 v13, v77, v5
	v_sub_f32_e32 v12, v59, v9
	v_add_f32_e32 v17, v77, v5
	v_add_f32_e32 v16, v59, v9
	v_mul_f32_e32 v5, -0.5, v80
	v_mul_f32_e32 v59, 0x3f5db3d7, v58
	v_fmamk_f32 v61, v26, 0xbf5db3d7, v82
	v_fmac_f32_e32 v76, 0xbf5db3d7, v31
	v_sub_f32_e32 v25, v2, v68
	v_add_f32_e32 v31, v2, v68
	v_mul_f32_e32 v2, -0.5, v72
	v_mul_f32_e32 v96, v55, v92
	v_mul_f32_e32 v92, v54, v92
	v_mul_f32_e32 v119, v44, v116
	v_fmamk_f32 v62, v91, 0xbf5db3d7, v40
	v_fmac_f32_e32 v40, 0x3f5db3d7, v91
	v_sub_f32_e32 v65, v65, v27
	v_fmac_f32_e32 v7, 0.5, v57
	v_fmamk_f32 v53, v36, 0xbf5db3d7, v60
	v_fmac_f32_e32 v60, 0x3f5db3d7, v36
	v_fma_f32 v66, -0.5, v66, v38
	v_add_f32_e32 v69, v14, v69
	v_sub_f32_e32 v14, v41, v70
	v_add_f32_e32 v18, v41, v70
	v_fmac_f32_e32 v74, 0x3f5db3d7, v73
	v_fmac_f32_e32 v75, 0.5, v35
	v_fmamk_f32 v70, v23, 0x3f5db3d7, v81
	v_fmac_f32_e32 v82, 0x3f5db3d7, v26
	v_fmac_f32_e32 v5, 0xbf5db3d7, v79
	v_fmac_f32_e32 v59, 0.5, v63
	v_fmac_f32_e32 v2, 0xbf5db3d7, v61
	v_fmac_f32_e32 v93, v8, v99
	v_mul_f32_e32 v9, -0.5, v79
	v_sub_f32_e32 v32, v19, v15
	v_add_f32_e32 v46, v19, v15
	v_add_f32_e32 v64, v64, v30
	v_sub_f32_e32 v15, v34, v7
	v_add_f32_e32 v19, v34, v7
	v_mul_f32_e32 v7, 0xbf5db3d7, v63
	v_fmamk_f32 v73, v65, 0xbf5db3d7, v66
	v_fmac_f32_e32 v66, 0x3f5db3d7, v65
	v_sub_f32_e32 v22, v62, v74
	v_sub_f32_e32 v24, v40, v75
	v_add_f32_e32 v26, v62, v74
	v_add_f32_e32 v30, v40, v75
	v_mul_f32_e32 v62, 0xbf5db3d7, v82
	v_mul_f32_e32 v65, 0x3f5db3d7, v76
	v_sub_f32_e32 v35, v78, v5
	v_sub_f32_e32 v36, v60, v59
	v_add_f32_e32 v39, v78, v5
	v_add_f32_e32 v40, v60, v59
	v_sub_f32_e32 v59, v70, v2
	v_add_f32_e32 v5, v70, v2
	v_mul_f32_e32 v2, v45, v116
	v_fma_f32 v52, v6, v52, -v97
	v_fmac_f32_e32 v119, v4, v45
	v_add_f32_e32 v6, v108, v93
	v_fmac_f32_e32 v92, v3, v55
	v_fmac_f32_e32 v9, 0x3f5db3d7, v80
	;; [unrolled: 1-line block ×3, first 2 shown]
	v_fmac_f32_e32 v7, 0.5, v58
	v_fmac_f32_e32 v62, 0.5, v76
	v_fmac_f32_e32 v65, 0.5, v82
	v_fma_f32 v2, v4, v44, -v2
	v_fma_f32 v44, -0.5, v6, v119
	v_add_f32_e32 v6, v90, v92
	v_mul_f32_e32 v63, -0.5, v61
	v_sub_f32_e32 v34, v53, v9
	v_add_f32_e32 v38, v53, v9
	v_fma_f32 v53, v8, v98, -v118
	v_fma_f32 v3, v3, v54, -v96
	v_sub_f32_e32 v37, v43, v7
	v_add_f32_e32 v41, v43, v7
	v_sub_f32_e32 v61, v81, v62
	v_sub_f32_e32 v60, v66, v65
	v_add_f32_e32 v7, v81, v62
	v_fma_f32 v62, -0.5, v6, v94
	v_add_f32_e32 v6, v66, v65
	v_mul_hi_u32 v66, 0x1b4e81b5, v88
	v_fmac_f32_e32 v63, 0x3f5db3d7, v72
	v_add_f32_e32 v4, v52, v53
	v_sub_f32_e32 v55, v89, v3
	v_sub_f32_e32 v43, v52, v53
	;; [unrolled: 1-line block ×4, first 2 shown]
	v_fma_f32 v45, -0.5, v4, v2
	v_add_f32_e32 v4, v73, v63
	v_fmamk_f32 v63, v55, 0x3f5db3d7, v62
	v_fmac_f32_e32 v62, 0xbf5db3d7, v55
	v_add_f32_e32 v55, v90, v94
	v_lshrrev_b32_e32 v66, 6, v66
	v_sub_f32_e32 v57, v83, v64
	v_sub_f32_e32 v23, v71, v67
	v_add_f32_e32 v27, v71, v67
	v_fmamk_f32 v54, v43, 0x3f5db3d7, v44
	v_add_f32_e32 v9, v83, v64
	v_fmamk_f32 v64, v8, 0xbf5db3d7, v45
	v_fmac_f32_e32 v45, 0x3f5db3d7, v8
	v_fmac_f32_e32 v44, 0xbf5db3d7, v43
	v_add_f32_e32 v71, v92, v55
	v_mul_u32_u24_e32 v55, 0x258, v66
	v_add_f32_e32 v68, v89, v3
	v_mul_f32_e32 v65, 0xbf5db3d7, v45
	v_mul_f32_e32 v72, 0x3f5db3d7, v44
	v_add_f32_e32 v2, v2, v52
	v_sub_nc_u32_e32 v73, v88, v55
	v_mul_f32_e32 v67, -0.5, v54
	v_fmac_f32_e32 v65, 0.5, v44
	v_fmac_f32_e32 v72, 0.5, v45
	v_fma_f32 v68, -0.5, v68, v42
	v_mad_u64_u32 v[44:45], null, s2, v73, 0
	v_sub_f32_e32 v70, v90, v92
	v_add_f32_e32 v42, v42, v89
	v_add_f32_e32 v74, v2, v53
	v_sub_f32_e32 v56, v84, v69
	v_fmac_f32_e32 v67, 0xbf5db3d7, v64
	v_add_f32_e32 v8, v84, v69
	v_mov_b32_e32 v2, v45
	v_add_f32_e32 v69, v119, v108
	v_mul_f32_e32 v64, -0.5, v64
	v_fmamk_f32 v66, v70, 0xbf5db3d7, v68
	v_fmac_f32_e32 v68, 0x3f5db3d7, v70
	v_add_f32_e32 v70, v42, v3
	v_mad_u64_u32 v[2:3], null, s3, v73, v[2:3]
	v_add_f32_e32 v69, v69, v93
	v_fmac_f32_e32 v64, 0x3f5db3d7, v54
	v_add_nc_u32_e32 v3, 0x258, v73
	v_sub_f32_e32 v43, v63, v67
	v_sub_f32_e32 v53, v62, v65
	;; [unrolled: 1-line block ×5, first 2 shown]
	v_add_f32_e32 v63, v63, v67
	v_add_f32_e32 v65, v62, v65
	;; [unrolled: 1-line block ×5, first 2 shown]
	v_mad_u64_u32 v[68:69], null, s2, v3, 0
	v_add_nc_u32_e32 v72, 0x4b0, v73
	v_mov_b32_e32 v45, v2
	v_add_co_u32 v71, vcc_lo, s10, v50
	v_sub_f32_e32 v54, v70, v74
	v_add_f32_e32 v66, v70, v74
	v_mov_b32_e32 v2, v69
	v_add_co_ci_u32_e32 v74, vcc_lo, s11, v51, vcc_lo
	v_mad_u64_u32 v[50:51], null, s2, v72, 0
	v_mad_u64_u32 v[69:70], null, s3, v3, v[2:3]
	v_add_co_u32 v2, vcc_lo, v71, v48
	v_add_co_ci_u32_e32 v3, vcc_lo, v74, v49, vcc_lo
	v_add_nc_u32_e32 v74, 0x708, v73
	v_mov_b32_e32 v48, v51
	v_add_nc_u32_e32 v76, 0x78, v88
	v_lshlrev_b64 v[44:45], 3, v[44:45]
	v_add_nc_u32_e32 v78, 0x960, v73
	v_mad_u64_u32 v[70:71], null, s2, v74, 0
	v_mad_u64_u32 v[48:49], null, s3, v72, v[48:49]
	v_add_nc_u32_e32 v79, 0xbb8, v73
	v_lshlrev_b64 v[68:69], 3, v[68:69]
	v_add_co_u32 v44, vcc_lo, v2, v44
	v_mov_b32_e32 v49, v71
	v_mul_hi_u32 v71, 0x1b4e81b5, v76
	v_mov_b32_e32 v51, v48
	v_mad_u64_u32 v[72:73], null, s2, v78, 0
	v_mad_u64_u32 v[48:49], null, s3, v74, v[49:50]
	v_lshlrev_b64 v[49:50], 3, v[50:51]
	v_mad_u64_u32 v[74:75], null, s2, v79, 0
	v_lshrrev_b32_e32 v77, 6, v71
	v_add_co_ci_u32_e32 v45, vcc_lo, v3, v45, vcc_lo
	v_mov_b32_e32 v71, v48
	v_add_co_u32 v68, vcc_lo, v2, v68
	v_mul_u32_u24_e32 v48, 0x258, v77
	v_add_co_ci_u32_e32 v69, vcc_lo, v3, v69, vcc_lo
	v_mov_b32_e32 v51, v75
	v_lshlrev_b64 v[70:71], 3, v[70:71]
	v_sub_nc_u32_e32 v76, v76, v48
	v_add_co_u32 v48, vcc_lo, v2, v49
	v_add_co_ci_u32_e32 v49, vcc_lo, v3, v50, vcc_lo
	v_mov_b32_e32 v50, v73
	v_mad_u32_u24 v80, 0xe10, v77, v76
	v_add_co_u32 v70, vcc_lo, v2, v70
	global_store_dwordx2 v[44:45], v[66:67], off
	global_store_dwordx2 v[68:69], v[64:65], off
	v_mad_u64_u32 v[75:76], null, s3, v78, v[50:51]
	v_mad_u64_u32 v[76:77], null, s2, v80, 0
	v_mad_u64_u32 v[50:51], null, s3, v79, v[51:52]
	v_add_co_ci_u32_e32 v71, vcc_lo, v3, v71, vcc_lo
	v_mov_b32_e32 v73, v75
	v_add_nc_u32_e32 v66, 0x258, v80
	v_mov_b32_e32 v44, v77
	global_store_dwordx2 v[48:49], v[62:63], off
	global_store_dwordx2 v[70:71], v[54:55], off
	v_mov_b32_e32 v75, v50
	v_lshlrev_b64 v[48:49], 3, v[72:73]
	v_mad_u64_u32 v[54:55], null, s2, v66, 0
	v_mad_u64_u32 v[44:45], null, s3, v80, v[44:45]
	v_add_nc_u32_e32 v68, 0x4b0, v80
	v_lshlrev_b64 v[50:51], 3, v[74:75]
	v_add_co_u32 v48, vcc_lo, v2, v48
	v_add_co_ci_u32_e32 v49, vcc_lo, v3, v49, vcc_lo
	v_mov_b32_e32 v77, v44
	v_mad_u64_u32 v[64:65], null, s2, v68, 0
	v_add_co_u32 v44, vcc_lo, v2, v50
	v_mov_b32_e32 v50, v55
	v_add_nc_u32_e32 v71, 0xf0, v88
	v_lshlrev_b64 v[62:63], 3, v[76:77]
	v_add_co_ci_u32_e32 v45, vcc_lo, v3, v51, vcc_lo
	v_mad_u64_u32 v[50:51], null, s3, v66, v[50:51]
	v_add_nc_u32_e32 v70, 0x708, v80
	v_mov_b32_e32 v51, v65
	v_mul_hi_u32 v65, 0x1b4e81b5, v71
	v_add_co_u32 v62, vcc_lo, v2, v62
	v_mad_u64_u32 v[66:67], null, s2, v70, 0
	v_add_co_ci_u32_e32 v63, vcc_lo, v3, v63, vcc_lo
	v_mad_u64_u32 v[68:69], null, s3, v68, v[51:52]
	v_mov_b32_e32 v55, v50
	global_store_dwordx2 v[48:49], v[52:53], off
	global_store_dwordx2 v[44:45], v[42:43], off
	;; [unrolled: 1-line block ×3, first 2 shown]
	v_lshrrev_b32_e32 v45, 6, v65
	v_mov_b32_e32 v42, v67
	v_lshlrev_b64 v[8:9], 3, v[54:55]
	v_mov_b32_e32 v65, v68
	v_add_nc_u32_e32 v54, 0x960, v80
	v_mul_u32_u24_e32 v48, 0x258, v45
	v_mad_u64_u32 v[42:43], null, s3, v70, v[42:43]
	v_add_co_u32 v8, vcc_lo, v2, v8
	v_mad_u64_u32 v[43:44], null, s2, v54, 0
	v_sub_nc_u32_e32 v50, v71, v48
	v_lshlrev_b64 v[48:49], 3, v[64:65]
	v_add_nc_u32_e32 v64, 0xbb8, v80
	v_mov_b32_e32 v67, v42
	v_add_co_ci_u32_e32 v9, vcc_lo, v3, v9, vcc_lo
	v_mad_u32_u24 v68, 0xe10, v45, v50
	v_mad_u64_u32 v[50:51], null, s2, v64, 0
	v_mov_b32_e32 v42, v44
	v_lshlrev_b64 v[44:45], 3, v[66:67]
	v_mad_u64_u32 v[52:53], null, s2, v68, 0
	v_add_co_u32 v48, vcc_lo, v2, v48
	v_mad_u64_u32 v[54:55], null, s3, v54, v[42:43]
	v_mov_b32_e32 v42, v51
	v_add_co_ci_u32_e32 v49, vcc_lo, v3, v49, vcc_lo
	v_mov_b32_e32 v51, v53
	v_add_co_u32 v62, vcc_lo, v2, v44
	v_mad_u64_u32 v[64:65], null, s3, v64, v[42:43]
	v_mad_u64_u32 v[65:66], null, s3, v68, v[51:52]
	v_mov_b32_e32 v44, v54
	v_add_co_ci_u32_e32 v63, vcc_lo, v3, v45, vcc_lo
	global_store_dwordx2 v[8:9], v[6:7], off
	global_store_dwordx2 v[48:49], v[4:5], off
	global_store_dwordx2 v[62:63], v[56:57], off
	v_mov_b32_e32 v51, v64
	v_lshlrev_b64 v[4:5], 3, v[43:44]
	v_add_nc_u32_e32 v48, 0x258, v68
	v_add_nc_u32_e32 v54, 0x4b0, v68
	v_mov_b32_e32 v53, v65
	v_lshlrev_b64 v[8:9], 3, v[50:51]
	v_mad_u64_u32 v[6:7], null, s2, v48, 0
	v_add_co_u32 v4, vcc_lo, v2, v4
	v_mad_u64_u32 v[44:45], null, s2, v54, 0
	v_add_co_ci_u32_e32 v5, vcc_lo, v3, v5, vcc_lo
	v_lshlrev_b64 v[42:43], 3, v[52:53]
	v_add_co_u32 v8, vcc_lo, v2, v8
	v_add_co_ci_u32_e32 v9, vcc_lo, v3, v9, vcc_lo
	global_store_dwordx2 v[4:5], v[60:61], off
	v_mad_u64_u32 v[48:49], null, s3, v48, v[7:8]
	v_mov_b32_e32 v7, v45
	v_add_co_u32 v42, vcc_lo, v2, v42
	v_add_co_ci_u32_e32 v43, vcc_lo, v3, v43, vcc_lo
	v_mad_u64_u32 v[49:50], null, s3, v54, v[7:8]
	global_store_dwordx2 v[8:9], v[58:59], off
	global_store_dwordx2 v[42:43], v[46:47], off
	v_add_nc_u32_e32 v47, 0x168, v88
	v_mov_b32_e32 v7, v48
	v_add_nc_u32_e32 v46, 0x708, v68
	v_add_nc_u32_e32 v48, 0x960, v68
	;; [unrolled: 1-line block ×3, first 2 shown]
	v_mul_hi_u32 v42, 0x1b4e81b5, v47
	v_mov_b32_e32 v45, v49
	v_lshlrev_b64 v[4:5], 3, v[6:7]
	v_mad_u64_u32 v[6:7], null, s2, v46, 0
	v_lshlrev_b64 v[8:9], 3, v[44:45]
	v_lshrrev_b32_e32 v49, 6, v42
	v_mad_u64_u32 v[42:43], null, s2, v48, 0
	v_add_co_u32 v4, vcc_lo, v2, v4
	v_mad_u64_u32 v[44:45], null, s3, v46, v[7:8]
	v_mul_u32_u24_e32 v7, 0x258, v49
	v_add_co_ci_u32_e32 v5, vcc_lo, v3, v5, vcc_lo
	v_add_co_u32 v8, vcc_lo, v2, v8
	v_sub_nc_u32_e32 v47, v47, v7
	v_mov_b32_e32 v7, v44
	v_mad_u64_u32 v[43:44], null, s3, v48, v[43:44]
	v_add_co_ci_u32_e32 v9, vcc_lo, v3, v9, vcc_lo
	v_mad_u64_u32 v[45:46], null, s2, v50, 0
	v_mad_u32_u24 v44, 0xe10, v49, v47
	global_store_dwordx2 v[4:5], v[40:41], off
	global_store_dwordx2 v[8:9], v[38:39], off
	v_lshlrev_b64 v[4:5], 3, v[6:7]
	v_mad_u64_u32 v[7:8], null, s2, v44, 0
	v_mov_b32_e32 v6, v46
	v_add_nc_u32_e32 v41, 0x258, v44
	v_add_co_u32 v4, vcc_lo, v2, v4
	v_add_co_ci_u32_e32 v5, vcc_lo, v3, v5, vcc_lo
	v_mad_u64_u32 v[38:39], null, s3, v50, v[6:7]
	v_mov_b32_e32 v6, v8
	v_lshlrev_b64 v[8:9], 3, v[42:43]
	global_store_dwordx2 v[4:5], v[32:33], off
	v_mov_b32_e32 v46, v38
	v_mad_u64_u32 v[38:39], null, s3, v44, v[6:7]
	v_mad_u64_u32 v[39:40], null, s2, v41, 0
	v_add_co_u32 v32, vcc_lo, v2, v8
	v_lshlrev_b64 v[4:5], 3, v[45:46]
	v_add_co_ci_u32_e32 v33, vcc_lo, v3, v9, vcc_lo
	v_mov_b32_e32 v8, v38
	v_mov_b32_e32 v6, v40
	v_add_nc_u32_e32 v9, 0x4b0, v44
	v_add_co_u32 v4, vcc_lo, v2, v4
	v_lshlrev_b64 v[7:8], 3, v[7:8]
	v_add_co_ci_u32_e32 v5, vcc_lo, v3, v5, vcc_lo
	global_store_dwordx2 v[32:33], v[36:37], off
	global_store_dwordx2 v[4:5], v[34:35], off
	v_mad_u64_u32 v[40:41], null, s3, v41, v[6:7]
	v_mad_u64_u32 v[41:42], null, s2, v9, 0
	v_add_co_u32 v6, vcc_lo, v2, v7
	v_add_co_ci_u32_e32 v7, vcc_lo, v3, v8, vcc_lo
	v_add_nc_u32_e32 v32, 0x708, v44
	v_add_nc_u32_e32 v34, 0x1e0, v88
	v_mov_b32_e32 v4, v42
	global_store_dwordx2 v[6:7], v[28:29], off
	v_lshlrev_b64 v[5:6], 3, v[39:40]
	v_add_nc_u32_e32 v35, 0x960, v44
	v_mul_hi_u32 v33, 0x1b4e81b5, v34
	v_add_nc_u32_e32 v36, 0xbb8, v44
	v_mad_u64_u32 v[7:8], null, s3, v9, v[4:5]
	v_mad_u64_u32 v[8:9], null, s2, v32, 0
	v_add_co_u32 v4, vcc_lo, v2, v5
	v_add_co_ci_u32_e32 v5, vcc_lo, v3, v6, vcc_lo
	v_lshrrev_b32_e32 v37, 6, v33
	v_mad_u64_u32 v[28:29], null, s2, v35, 0
	v_mov_b32_e32 v6, v9
	v_mov_b32_e32 v42, v7
	global_store_dwordx2 v[4:5], v[30:31], off
	v_mad_u64_u32 v[6:7], null, s3, v32, v[6:7]
	v_mul_u32_u24_e32 v7, 0x258, v37
	v_mov_b32_e32 v4, v29
	v_mad_u64_u32 v[32:33], null, s2, v36, 0
	v_lshlrev_b64 v[29:30], 3, v[41:42]
	v_sub_nc_u32_e32 v31, v34, v7
	v_mad_u64_u32 v[4:5], null, s3, v35, v[4:5]
	v_mov_b32_e32 v9, v6
	v_mad_u32_u24 v37, 0xe10, v37, v31
	v_mov_b32_e32 v5, v33
	v_add_co_u32 v6, vcc_lo, v2, v29
	v_lshlrev_b64 v[8:9], 3, v[8:9]
	v_mad_u64_u32 v[34:35], null, s2, v37, 0
	v_add_co_ci_u32_e32 v7, vcc_lo, v3, v30, vcc_lo
	v_mov_b32_e32 v29, v4
	v_mad_u64_u32 v[30:31], null, s3, v36, v[5:6]
	v_add_co_u32 v4, vcc_lo, v2, v8
	global_store_dwordx2 v[6:7], v[26:27], off
	v_lshlrev_b64 v[7:8], 3, v[28:29]
	v_add_co_ci_u32_e32 v5, vcc_lo, v3, v9, vcc_lo
	v_mov_b32_e32 v6, v35
	v_mov_b32_e32 v33, v30
	v_add_nc_u32_e32 v26, 0x258, v37
	global_store_dwordx2 v[4:5], v[20:21], off
	v_add_nc_u32_e32 v27, 0x708, v37
	v_mad_u64_u32 v[20:21], null, s3, v37, v[6:7]
	v_add_co_u32 v6, vcc_lo, v2, v7
	v_add_co_ci_u32_e32 v7, vcc_lo, v3, v8, vcc_lo
	v_lshlrev_b64 v[4:5], 3, v[32:33]
	v_mad_u64_u32 v[8:9], null, s2, v26, 0
	global_store_dwordx2 v[6:7], v[24:25], off
	v_add_nc_u32_e32 v24, 0x4b0, v37
	v_mov_b32_e32 v35, v20
	v_add_co_u32 v4, vcc_lo, v2, v4
	v_add_co_ci_u32_e32 v5, vcc_lo, v3, v5, vcc_lo
	v_mad_u64_u32 v[6:7], null, s2, v24, 0
	v_mad_u64_u32 v[20:21], null, s2, v27, 0
	global_store_dwordx2 v[4:5], v[22:23], off
	v_lshlrev_b64 v[4:5], 3, v[34:35]
	v_add_nc_u32_e32 v29, 0x960, v37
	v_mad_u64_u32 v[22:23], null, s3, v26, v[9:10]
	v_mad_u64_u32 v[23:24], null, s3, v24, v[7:8]
	v_mov_b32_e32 v7, v21
	v_mad_u64_u32 v[24:25], null, s2, v29, 0
	v_add_co_u32 v4, vcc_lo, v2, v4
	v_add_nc_u32_e32 v30, 0xbb8, v37
	v_add_co_ci_u32_e32 v5, vcc_lo, v3, v5, vcc_lo
	v_mad_u64_u32 v[26:27], null, s3, v27, v[7:8]
	v_mad_u64_u32 v[27:28], null, s2, v30, 0
	global_store_dwordx2 v[4:5], v[10:11], off
	v_mov_b32_e32 v4, v25
	v_mov_b32_e32 v7, v23
	v_mov_b32_e32 v9, v22
	v_mov_b32_e32 v21, v26
	v_mad_u64_u32 v[4:5], null, s3, v29, v[4:5]
	v_lshlrev_b64 v[6:7], 3, v[6:7]
	v_mov_b32_e32 v5, v28
	v_lshlrev_b64 v[8:9], 3, v[8:9]
	v_lshlrev_b64 v[20:21], 3, v[20:21]
	v_mad_u64_u32 v[10:11], null, s3, v30, v[5:6]
	v_add_co_u32 v8, vcc_lo, v2, v8
	v_mov_b32_e32 v25, v4
	v_add_co_ci_u32_e32 v9, vcc_lo, v3, v9, vcc_lo
	v_add_co_u32 v4, vcc_lo, v2, v6
	v_mov_b32_e32 v28, v10
	v_add_co_ci_u32_e32 v5, vcc_lo, v3, v7, vcc_lo
	v_lshlrev_b64 v[6:7], 3, v[24:25]
	v_add_co_u32 v10, vcc_lo, v2, v20
	v_add_co_ci_u32_e32 v11, vcc_lo, v3, v21, vcc_lo
	v_lshlrev_b64 v[20:21], 3, v[27:28]
	v_add_co_u32 v6, vcc_lo, v2, v6
	v_add_co_ci_u32_e32 v7, vcc_lo, v3, v7, vcc_lo
	v_add_co_u32 v2, vcc_lo, v2, v20
	v_add_co_ci_u32_e32 v3, vcc_lo, v3, v21, vcc_lo
	global_store_dwordx2 v[8:9], v[18:19], off
	global_store_dwordx2 v[4:5], v[16:17], off
	;; [unrolled: 1-line block ×5, first 2 shown]
.LBB0_15:
	s_endpgm
	.section	.rodata,"a",@progbits
	.p2align	6, 0x0
	.amdhsa_kernel fft_rtc_fwd_len3600_factors_10_10_6_6_wgs_120_tpt_120_halfLds_sp_op_CI_CI_sbrr_dirReg
		.amdhsa_group_segment_fixed_size 0
		.amdhsa_private_segment_fixed_size 0
		.amdhsa_kernarg_size 104
		.amdhsa_user_sgpr_count 6
		.amdhsa_user_sgpr_private_segment_buffer 1
		.amdhsa_user_sgpr_dispatch_ptr 0
		.amdhsa_user_sgpr_queue_ptr 0
		.amdhsa_user_sgpr_kernarg_segment_ptr 1
		.amdhsa_user_sgpr_dispatch_id 0
		.amdhsa_user_sgpr_flat_scratch_init 0
		.amdhsa_user_sgpr_private_segment_size 0
		.amdhsa_wavefront_size32 1
		.amdhsa_uses_dynamic_stack 0
		.amdhsa_system_sgpr_private_segment_wavefront_offset 0
		.amdhsa_system_sgpr_workgroup_id_x 1
		.amdhsa_system_sgpr_workgroup_id_y 0
		.amdhsa_system_sgpr_workgroup_id_z 0
		.amdhsa_system_sgpr_workgroup_info 0
		.amdhsa_system_vgpr_workitem_id 0
		.amdhsa_next_free_vgpr 138
		.amdhsa_next_free_sgpr 31
		.amdhsa_reserve_vcc 1
		.amdhsa_reserve_flat_scratch 0
		.amdhsa_float_round_mode_32 0
		.amdhsa_float_round_mode_16_64 0
		.amdhsa_float_denorm_mode_32 3
		.amdhsa_float_denorm_mode_16_64 3
		.amdhsa_dx10_clamp 1
		.amdhsa_ieee_mode 1
		.amdhsa_fp16_overflow 0
		.amdhsa_workgroup_processor_mode 1
		.amdhsa_memory_ordered 1
		.amdhsa_forward_progress 0
		.amdhsa_shared_vgpr_count 0
		.amdhsa_exception_fp_ieee_invalid_op 0
		.amdhsa_exception_fp_denorm_src 0
		.amdhsa_exception_fp_ieee_div_zero 0
		.amdhsa_exception_fp_ieee_overflow 0
		.amdhsa_exception_fp_ieee_underflow 0
		.amdhsa_exception_fp_ieee_inexact 0
		.amdhsa_exception_int_div_zero 0
	.end_amdhsa_kernel
	.text
.Lfunc_end0:
	.size	fft_rtc_fwd_len3600_factors_10_10_6_6_wgs_120_tpt_120_halfLds_sp_op_CI_CI_sbrr_dirReg, .Lfunc_end0-fft_rtc_fwd_len3600_factors_10_10_6_6_wgs_120_tpt_120_halfLds_sp_op_CI_CI_sbrr_dirReg
                                        ; -- End function
	.section	.AMDGPU.csdata,"",@progbits
; Kernel info:
; codeLenInByte = 18220
; NumSgprs: 33
; NumVgprs: 138
; ScratchSize: 0
; MemoryBound: 0
; FloatMode: 240
; IeeeMode: 1
; LDSByteSize: 0 bytes/workgroup (compile time only)
; SGPRBlocks: 4
; VGPRBlocks: 17
; NumSGPRsForWavesPerEU: 33
; NumVGPRsForWavesPerEU: 138
; Occupancy: 7
; WaveLimiterHint : 1
; COMPUTE_PGM_RSRC2:SCRATCH_EN: 0
; COMPUTE_PGM_RSRC2:USER_SGPR: 6
; COMPUTE_PGM_RSRC2:TRAP_HANDLER: 0
; COMPUTE_PGM_RSRC2:TGID_X_EN: 1
; COMPUTE_PGM_RSRC2:TGID_Y_EN: 0
; COMPUTE_PGM_RSRC2:TGID_Z_EN: 0
; COMPUTE_PGM_RSRC2:TIDIG_COMP_CNT: 0
	.text
	.p2alignl 6, 3214868480
	.fill 48, 4, 3214868480
	.type	__hip_cuid_32fda3e1854640b8,@object ; @__hip_cuid_32fda3e1854640b8
	.section	.bss,"aw",@nobits
	.globl	__hip_cuid_32fda3e1854640b8
__hip_cuid_32fda3e1854640b8:
	.byte	0                               ; 0x0
	.size	__hip_cuid_32fda3e1854640b8, 1

	.ident	"AMD clang version 19.0.0git (https://github.com/RadeonOpenCompute/llvm-project roc-6.4.0 25133 c7fe45cf4b819c5991fe208aaa96edf142730f1d)"
	.section	".note.GNU-stack","",@progbits
	.addrsig
	.addrsig_sym __hip_cuid_32fda3e1854640b8
	.amdgpu_metadata
---
amdhsa.kernels:
  - .args:
      - .actual_access:  read_only
        .address_space:  global
        .offset:         0
        .size:           8
        .value_kind:     global_buffer
      - .offset:         8
        .size:           8
        .value_kind:     by_value
      - .actual_access:  read_only
        .address_space:  global
        .offset:         16
        .size:           8
        .value_kind:     global_buffer
      - .actual_access:  read_only
        .address_space:  global
        .offset:         24
        .size:           8
        .value_kind:     global_buffer
      - .actual_access:  read_only
        .address_space:  global
        .offset:         32
        .size:           8
        .value_kind:     global_buffer
      - .offset:         40
        .size:           8
        .value_kind:     by_value
      - .actual_access:  read_only
        .address_space:  global
        .offset:         48
        .size:           8
        .value_kind:     global_buffer
      - .actual_access:  read_only
        .address_space:  global
        .offset:         56
        .size:           8
        .value_kind:     global_buffer
      - .offset:         64
        .size:           4
        .value_kind:     by_value
      - .actual_access:  read_only
        .address_space:  global
        .offset:         72
        .size:           8
        .value_kind:     global_buffer
      - .actual_access:  read_only
        .address_space:  global
        .offset:         80
        .size:           8
        .value_kind:     global_buffer
      - .actual_access:  read_only
        .address_space:  global
        .offset:         88
        .size:           8
        .value_kind:     global_buffer
      - .actual_access:  write_only
        .address_space:  global
        .offset:         96
        .size:           8
        .value_kind:     global_buffer
    .group_segment_fixed_size: 0
    .kernarg_segment_align: 8
    .kernarg_segment_size: 104
    .language:       OpenCL C
    .language_version:
      - 2
      - 0
    .max_flat_workgroup_size: 120
    .name:           fft_rtc_fwd_len3600_factors_10_10_6_6_wgs_120_tpt_120_halfLds_sp_op_CI_CI_sbrr_dirReg
    .private_segment_fixed_size: 0
    .sgpr_count:     33
    .sgpr_spill_count: 0
    .symbol:         fft_rtc_fwd_len3600_factors_10_10_6_6_wgs_120_tpt_120_halfLds_sp_op_CI_CI_sbrr_dirReg.kd
    .uniform_work_group_size: 1
    .uses_dynamic_stack: false
    .vgpr_count:     138
    .vgpr_spill_count: 0
    .wavefront_size: 32
    .workgroup_processor_mode: 1
amdhsa.target:   amdgcn-amd-amdhsa--gfx1030
amdhsa.version:
  - 1
  - 2
...

	.end_amdgpu_metadata
